;; amdgpu-corpus repo=ROCm/rocThrust kind=compiled arch=gfx90a opt=O3
	.text
	.amdgcn_target "amdgcn-amd-amdhsa--gfx90a"
	.amdhsa_code_object_version 6
	.section	.text._ZN7rocprim17ROCPRIM_400000_NS6detail17trampoline_kernelINS0_14default_configENS1_22reduce_config_selectorIiEEZNS1_11reduce_implILb1ES3_PiS7_iN6thrust23THRUST_200600_302600_NS4plusIiEEEE10hipError_tPvRmT1_T2_T3_mT4_P12ihipStream_tbEUlT_E0_NS1_11comp_targetILNS1_3genE0ELNS1_11target_archE4294967295ELNS1_3gpuE0ELNS1_3repE0EEENS1_30default_config_static_selectorELNS0_4arch9wavefront6targetE1EEEvSF_,"axG",@progbits,_ZN7rocprim17ROCPRIM_400000_NS6detail17trampoline_kernelINS0_14default_configENS1_22reduce_config_selectorIiEEZNS1_11reduce_implILb1ES3_PiS7_iN6thrust23THRUST_200600_302600_NS4plusIiEEEE10hipError_tPvRmT1_T2_T3_mT4_P12ihipStream_tbEUlT_E0_NS1_11comp_targetILNS1_3genE0ELNS1_11target_archE4294967295ELNS1_3gpuE0ELNS1_3repE0EEENS1_30default_config_static_selectorELNS0_4arch9wavefront6targetE1EEEvSF_,comdat
	.protected	_ZN7rocprim17ROCPRIM_400000_NS6detail17trampoline_kernelINS0_14default_configENS1_22reduce_config_selectorIiEEZNS1_11reduce_implILb1ES3_PiS7_iN6thrust23THRUST_200600_302600_NS4plusIiEEEE10hipError_tPvRmT1_T2_T3_mT4_P12ihipStream_tbEUlT_E0_NS1_11comp_targetILNS1_3genE0ELNS1_11target_archE4294967295ELNS1_3gpuE0ELNS1_3repE0EEENS1_30default_config_static_selectorELNS0_4arch9wavefront6targetE1EEEvSF_ ; -- Begin function _ZN7rocprim17ROCPRIM_400000_NS6detail17trampoline_kernelINS0_14default_configENS1_22reduce_config_selectorIiEEZNS1_11reduce_implILb1ES3_PiS7_iN6thrust23THRUST_200600_302600_NS4plusIiEEEE10hipError_tPvRmT1_T2_T3_mT4_P12ihipStream_tbEUlT_E0_NS1_11comp_targetILNS1_3genE0ELNS1_11target_archE4294967295ELNS1_3gpuE0ELNS1_3repE0EEENS1_30default_config_static_selectorELNS0_4arch9wavefront6targetE1EEEvSF_
	.globl	_ZN7rocprim17ROCPRIM_400000_NS6detail17trampoline_kernelINS0_14default_configENS1_22reduce_config_selectorIiEEZNS1_11reduce_implILb1ES3_PiS7_iN6thrust23THRUST_200600_302600_NS4plusIiEEEE10hipError_tPvRmT1_T2_T3_mT4_P12ihipStream_tbEUlT_E0_NS1_11comp_targetILNS1_3genE0ELNS1_11target_archE4294967295ELNS1_3gpuE0ELNS1_3repE0EEENS1_30default_config_static_selectorELNS0_4arch9wavefront6targetE1EEEvSF_
	.p2align	8
	.type	_ZN7rocprim17ROCPRIM_400000_NS6detail17trampoline_kernelINS0_14default_configENS1_22reduce_config_selectorIiEEZNS1_11reduce_implILb1ES3_PiS7_iN6thrust23THRUST_200600_302600_NS4plusIiEEEE10hipError_tPvRmT1_T2_T3_mT4_P12ihipStream_tbEUlT_E0_NS1_11comp_targetILNS1_3genE0ELNS1_11target_archE4294967295ELNS1_3gpuE0ELNS1_3repE0EEENS1_30default_config_static_selectorELNS0_4arch9wavefront6targetE1EEEvSF_,@function
_ZN7rocprim17ROCPRIM_400000_NS6detail17trampoline_kernelINS0_14default_configENS1_22reduce_config_selectorIiEEZNS1_11reduce_implILb1ES3_PiS7_iN6thrust23THRUST_200600_302600_NS4plusIiEEEE10hipError_tPvRmT1_T2_T3_mT4_P12ihipStream_tbEUlT_E0_NS1_11comp_targetILNS1_3genE0ELNS1_11target_archE4294967295ELNS1_3gpuE0ELNS1_3repE0EEENS1_30default_config_static_selectorELNS0_4arch9wavefront6targetE1EEEvSF_: ; @_ZN7rocprim17ROCPRIM_400000_NS6detail17trampoline_kernelINS0_14default_configENS1_22reduce_config_selectorIiEEZNS1_11reduce_implILb1ES3_PiS7_iN6thrust23THRUST_200600_302600_NS4plusIiEEEE10hipError_tPvRmT1_T2_T3_mT4_P12ihipStream_tbEUlT_E0_NS1_11comp_targetILNS1_3genE0ELNS1_11target_archE4294967295ELNS1_3gpuE0ELNS1_3repE0EEENS1_30default_config_static_selectorELNS0_4arch9wavefront6targetE1EEEvSF_
; %bb.0:
	.section	.rodata,"a",@progbits
	.p2align	6, 0x0
	.amdhsa_kernel _ZN7rocprim17ROCPRIM_400000_NS6detail17trampoline_kernelINS0_14default_configENS1_22reduce_config_selectorIiEEZNS1_11reduce_implILb1ES3_PiS7_iN6thrust23THRUST_200600_302600_NS4plusIiEEEE10hipError_tPvRmT1_T2_T3_mT4_P12ihipStream_tbEUlT_E0_NS1_11comp_targetILNS1_3genE0ELNS1_11target_archE4294967295ELNS1_3gpuE0ELNS1_3repE0EEENS1_30default_config_static_selectorELNS0_4arch9wavefront6targetE1EEEvSF_
		.amdhsa_group_segment_fixed_size 0
		.amdhsa_private_segment_fixed_size 0
		.amdhsa_kernarg_size 56
		.amdhsa_user_sgpr_count 6
		.amdhsa_user_sgpr_private_segment_buffer 1
		.amdhsa_user_sgpr_dispatch_ptr 0
		.amdhsa_user_sgpr_queue_ptr 0
		.amdhsa_user_sgpr_kernarg_segment_ptr 1
		.amdhsa_user_sgpr_dispatch_id 0
		.amdhsa_user_sgpr_flat_scratch_init 0
		.amdhsa_user_sgpr_kernarg_preload_length 0
		.amdhsa_user_sgpr_kernarg_preload_offset 0
		.amdhsa_user_sgpr_private_segment_size 0
		.amdhsa_uses_dynamic_stack 0
		.amdhsa_system_sgpr_private_segment_wavefront_offset 0
		.amdhsa_system_sgpr_workgroup_id_x 1
		.amdhsa_system_sgpr_workgroup_id_y 0
		.amdhsa_system_sgpr_workgroup_id_z 0
		.amdhsa_system_sgpr_workgroup_info 0
		.amdhsa_system_vgpr_workitem_id 0
		.amdhsa_next_free_vgpr 1
		.amdhsa_next_free_sgpr 0
		.amdhsa_accum_offset 4
		.amdhsa_reserve_vcc 0
		.amdhsa_reserve_flat_scratch 0
		.amdhsa_float_round_mode_32 0
		.amdhsa_float_round_mode_16_64 0
		.amdhsa_float_denorm_mode_32 3
		.amdhsa_float_denorm_mode_16_64 3
		.amdhsa_dx10_clamp 1
		.amdhsa_ieee_mode 1
		.amdhsa_fp16_overflow 0
		.amdhsa_tg_split 0
		.amdhsa_exception_fp_ieee_invalid_op 0
		.amdhsa_exception_fp_denorm_src 0
		.amdhsa_exception_fp_ieee_div_zero 0
		.amdhsa_exception_fp_ieee_overflow 0
		.amdhsa_exception_fp_ieee_underflow 0
		.amdhsa_exception_fp_ieee_inexact 0
		.amdhsa_exception_int_div_zero 0
	.end_amdhsa_kernel
	.section	.text._ZN7rocprim17ROCPRIM_400000_NS6detail17trampoline_kernelINS0_14default_configENS1_22reduce_config_selectorIiEEZNS1_11reduce_implILb1ES3_PiS7_iN6thrust23THRUST_200600_302600_NS4plusIiEEEE10hipError_tPvRmT1_T2_T3_mT4_P12ihipStream_tbEUlT_E0_NS1_11comp_targetILNS1_3genE0ELNS1_11target_archE4294967295ELNS1_3gpuE0ELNS1_3repE0EEENS1_30default_config_static_selectorELNS0_4arch9wavefront6targetE1EEEvSF_,"axG",@progbits,_ZN7rocprim17ROCPRIM_400000_NS6detail17trampoline_kernelINS0_14default_configENS1_22reduce_config_selectorIiEEZNS1_11reduce_implILb1ES3_PiS7_iN6thrust23THRUST_200600_302600_NS4plusIiEEEE10hipError_tPvRmT1_T2_T3_mT4_P12ihipStream_tbEUlT_E0_NS1_11comp_targetILNS1_3genE0ELNS1_11target_archE4294967295ELNS1_3gpuE0ELNS1_3repE0EEENS1_30default_config_static_selectorELNS0_4arch9wavefront6targetE1EEEvSF_,comdat
.Lfunc_end0:
	.size	_ZN7rocprim17ROCPRIM_400000_NS6detail17trampoline_kernelINS0_14default_configENS1_22reduce_config_selectorIiEEZNS1_11reduce_implILb1ES3_PiS7_iN6thrust23THRUST_200600_302600_NS4plusIiEEEE10hipError_tPvRmT1_T2_T3_mT4_P12ihipStream_tbEUlT_E0_NS1_11comp_targetILNS1_3genE0ELNS1_11target_archE4294967295ELNS1_3gpuE0ELNS1_3repE0EEENS1_30default_config_static_selectorELNS0_4arch9wavefront6targetE1EEEvSF_, .Lfunc_end0-_ZN7rocprim17ROCPRIM_400000_NS6detail17trampoline_kernelINS0_14default_configENS1_22reduce_config_selectorIiEEZNS1_11reduce_implILb1ES3_PiS7_iN6thrust23THRUST_200600_302600_NS4plusIiEEEE10hipError_tPvRmT1_T2_T3_mT4_P12ihipStream_tbEUlT_E0_NS1_11comp_targetILNS1_3genE0ELNS1_11target_archE4294967295ELNS1_3gpuE0ELNS1_3repE0EEENS1_30default_config_static_selectorELNS0_4arch9wavefront6targetE1EEEvSF_
                                        ; -- End function
	.section	.AMDGPU.csdata,"",@progbits
; Kernel info:
; codeLenInByte = 0
; NumSgprs: 4
; NumVgprs: 0
; NumAgprs: 0
; TotalNumVgprs: 0
; ScratchSize: 0
; MemoryBound: 0
; FloatMode: 240
; IeeeMode: 1
; LDSByteSize: 0 bytes/workgroup (compile time only)
; SGPRBlocks: 0
; VGPRBlocks: 0
; NumSGPRsForWavesPerEU: 4
; NumVGPRsForWavesPerEU: 1
; AccumOffset: 4
; Occupancy: 8
; WaveLimiterHint : 0
; COMPUTE_PGM_RSRC2:SCRATCH_EN: 0
; COMPUTE_PGM_RSRC2:USER_SGPR: 6
; COMPUTE_PGM_RSRC2:TRAP_HANDLER: 0
; COMPUTE_PGM_RSRC2:TGID_X_EN: 1
; COMPUTE_PGM_RSRC2:TGID_Y_EN: 0
; COMPUTE_PGM_RSRC2:TGID_Z_EN: 0
; COMPUTE_PGM_RSRC2:TIDIG_COMP_CNT: 0
; COMPUTE_PGM_RSRC3_GFX90A:ACCUM_OFFSET: 0
; COMPUTE_PGM_RSRC3_GFX90A:TG_SPLIT: 0
	.section	.text._ZN7rocprim17ROCPRIM_400000_NS6detail17trampoline_kernelINS0_14default_configENS1_22reduce_config_selectorIiEEZNS1_11reduce_implILb1ES3_PiS7_iN6thrust23THRUST_200600_302600_NS4plusIiEEEE10hipError_tPvRmT1_T2_T3_mT4_P12ihipStream_tbEUlT_E0_NS1_11comp_targetILNS1_3genE5ELNS1_11target_archE942ELNS1_3gpuE9ELNS1_3repE0EEENS1_30default_config_static_selectorELNS0_4arch9wavefront6targetE1EEEvSF_,"axG",@progbits,_ZN7rocprim17ROCPRIM_400000_NS6detail17trampoline_kernelINS0_14default_configENS1_22reduce_config_selectorIiEEZNS1_11reduce_implILb1ES3_PiS7_iN6thrust23THRUST_200600_302600_NS4plusIiEEEE10hipError_tPvRmT1_T2_T3_mT4_P12ihipStream_tbEUlT_E0_NS1_11comp_targetILNS1_3genE5ELNS1_11target_archE942ELNS1_3gpuE9ELNS1_3repE0EEENS1_30default_config_static_selectorELNS0_4arch9wavefront6targetE1EEEvSF_,comdat
	.protected	_ZN7rocprim17ROCPRIM_400000_NS6detail17trampoline_kernelINS0_14default_configENS1_22reduce_config_selectorIiEEZNS1_11reduce_implILb1ES3_PiS7_iN6thrust23THRUST_200600_302600_NS4plusIiEEEE10hipError_tPvRmT1_T2_T3_mT4_P12ihipStream_tbEUlT_E0_NS1_11comp_targetILNS1_3genE5ELNS1_11target_archE942ELNS1_3gpuE9ELNS1_3repE0EEENS1_30default_config_static_selectorELNS0_4arch9wavefront6targetE1EEEvSF_ ; -- Begin function _ZN7rocprim17ROCPRIM_400000_NS6detail17trampoline_kernelINS0_14default_configENS1_22reduce_config_selectorIiEEZNS1_11reduce_implILb1ES3_PiS7_iN6thrust23THRUST_200600_302600_NS4plusIiEEEE10hipError_tPvRmT1_T2_T3_mT4_P12ihipStream_tbEUlT_E0_NS1_11comp_targetILNS1_3genE5ELNS1_11target_archE942ELNS1_3gpuE9ELNS1_3repE0EEENS1_30default_config_static_selectorELNS0_4arch9wavefront6targetE1EEEvSF_
	.globl	_ZN7rocprim17ROCPRIM_400000_NS6detail17trampoline_kernelINS0_14default_configENS1_22reduce_config_selectorIiEEZNS1_11reduce_implILb1ES3_PiS7_iN6thrust23THRUST_200600_302600_NS4plusIiEEEE10hipError_tPvRmT1_T2_T3_mT4_P12ihipStream_tbEUlT_E0_NS1_11comp_targetILNS1_3genE5ELNS1_11target_archE942ELNS1_3gpuE9ELNS1_3repE0EEENS1_30default_config_static_selectorELNS0_4arch9wavefront6targetE1EEEvSF_
	.p2align	8
	.type	_ZN7rocprim17ROCPRIM_400000_NS6detail17trampoline_kernelINS0_14default_configENS1_22reduce_config_selectorIiEEZNS1_11reduce_implILb1ES3_PiS7_iN6thrust23THRUST_200600_302600_NS4plusIiEEEE10hipError_tPvRmT1_T2_T3_mT4_P12ihipStream_tbEUlT_E0_NS1_11comp_targetILNS1_3genE5ELNS1_11target_archE942ELNS1_3gpuE9ELNS1_3repE0EEENS1_30default_config_static_selectorELNS0_4arch9wavefront6targetE1EEEvSF_,@function
_ZN7rocprim17ROCPRIM_400000_NS6detail17trampoline_kernelINS0_14default_configENS1_22reduce_config_selectorIiEEZNS1_11reduce_implILb1ES3_PiS7_iN6thrust23THRUST_200600_302600_NS4plusIiEEEE10hipError_tPvRmT1_T2_T3_mT4_P12ihipStream_tbEUlT_E0_NS1_11comp_targetILNS1_3genE5ELNS1_11target_archE942ELNS1_3gpuE9ELNS1_3repE0EEENS1_30default_config_static_selectorELNS0_4arch9wavefront6targetE1EEEvSF_: ; @_ZN7rocprim17ROCPRIM_400000_NS6detail17trampoline_kernelINS0_14default_configENS1_22reduce_config_selectorIiEEZNS1_11reduce_implILb1ES3_PiS7_iN6thrust23THRUST_200600_302600_NS4plusIiEEEE10hipError_tPvRmT1_T2_T3_mT4_P12ihipStream_tbEUlT_E0_NS1_11comp_targetILNS1_3genE5ELNS1_11target_archE942ELNS1_3gpuE9ELNS1_3repE0EEENS1_30default_config_static_selectorELNS0_4arch9wavefront6targetE1EEEvSF_
; %bb.0:
	.section	.rodata,"a",@progbits
	.p2align	6, 0x0
	.amdhsa_kernel _ZN7rocprim17ROCPRIM_400000_NS6detail17trampoline_kernelINS0_14default_configENS1_22reduce_config_selectorIiEEZNS1_11reduce_implILb1ES3_PiS7_iN6thrust23THRUST_200600_302600_NS4plusIiEEEE10hipError_tPvRmT1_T2_T3_mT4_P12ihipStream_tbEUlT_E0_NS1_11comp_targetILNS1_3genE5ELNS1_11target_archE942ELNS1_3gpuE9ELNS1_3repE0EEENS1_30default_config_static_selectorELNS0_4arch9wavefront6targetE1EEEvSF_
		.amdhsa_group_segment_fixed_size 0
		.amdhsa_private_segment_fixed_size 0
		.amdhsa_kernarg_size 56
		.amdhsa_user_sgpr_count 6
		.amdhsa_user_sgpr_private_segment_buffer 1
		.amdhsa_user_sgpr_dispatch_ptr 0
		.amdhsa_user_sgpr_queue_ptr 0
		.amdhsa_user_sgpr_kernarg_segment_ptr 1
		.amdhsa_user_sgpr_dispatch_id 0
		.amdhsa_user_sgpr_flat_scratch_init 0
		.amdhsa_user_sgpr_kernarg_preload_length 0
		.amdhsa_user_sgpr_kernarg_preload_offset 0
		.amdhsa_user_sgpr_private_segment_size 0
		.amdhsa_uses_dynamic_stack 0
		.amdhsa_system_sgpr_private_segment_wavefront_offset 0
		.amdhsa_system_sgpr_workgroup_id_x 1
		.amdhsa_system_sgpr_workgroup_id_y 0
		.amdhsa_system_sgpr_workgroup_id_z 0
		.amdhsa_system_sgpr_workgroup_info 0
		.amdhsa_system_vgpr_workitem_id 0
		.amdhsa_next_free_vgpr 1
		.amdhsa_next_free_sgpr 0
		.amdhsa_accum_offset 4
		.amdhsa_reserve_vcc 0
		.amdhsa_reserve_flat_scratch 0
		.amdhsa_float_round_mode_32 0
		.amdhsa_float_round_mode_16_64 0
		.amdhsa_float_denorm_mode_32 3
		.amdhsa_float_denorm_mode_16_64 3
		.amdhsa_dx10_clamp 1
		.amdhsa_ieee_mode 1
		.amdhsa_fp16_overflow 0
		.amdhsa_tg_split 0
		.amdhsa_exception_fp_ieee_invalid_op 0
		.amdhsa_exception_fp_denorm_src 0
		.amdhsa_exception_fp_ieee_div_zero 0
		.amdhsa_exception_fp_ieee_overflow 0
		.amdhsa_exception_fp_ieee_underflow 0
		.amdhsa_exception_fp_ieee_inexact 0
		.amdhsa_exception_int_div_zero 0
	.end_amdhsa_kernel
	.section	.text._ZN7rocprim17ROCPRIM_400000_NS6detail17trampoline_kernelINS0_14default_configENS1_22reduce_config_selectorIiEEZNS1_11reduce_implILb1ES3_PiS7_iN6thrust23THRUST_200600_302600_NS4plusIiEEEE10hipError_tPvRmT1_T2_T3_mT4_P12ihipStream_tbEUlT_E0_NS1_11comp_targetILNS1_3genE5ELNS1_11target_archE942ELNS1_3gpuE9ELNS1_3repE0EEENS1_30default_config_static_selectorELNS0_4arch9wavefront6targetE1EEEvSF_,"axG",@progbits,_ZN7rocprim17ROCPRIM_400000_NS6detail17trampoline_kernelINS0_14default_configENS1_22reduce_config_selectorIiEEZNS1_11reduce_implILb1ES3_PiS7_iN6thrust23THRUST_200600_302600_NS4plusIiEEEE10hipError_tPvRmT1_T2_T3_mT4_P12ihipStream_tbEUlT_E0_NS1_11comp_targetILNS1_3genE5ELNS1_11target_archE942ELNS1_3gpuE9ELNS1_3repE0EEENS1_30default_config_static_selectorELNS0_4arch9wavefront6targetE1EEEvSF_,comdat
.Lfunc_end1:
	.size	_ZN7rocprim17ROCPRIM_400000_NS6detail17trampoline_kernelINS0_14default_configENS1_22reduce_config_selectorIiEEZNS1_11reduce_implILb1ES3_PiS7_iN6thrust23THRUST_200600_302600_NS4plusIiEEEE10hipError_tPvRmT1_T2_T3_mT4_P12ihipStream_tbEUlT_E0_NS1_11comp_targetILNS1_3genE5ELNS1_11target_archE942ELNS1_3gpuE9ELNS1_3repE0EEENS1_30default_config_static_selectorELNS0_4arch9wavefront6targetE1EEEvSF_, .Lfunc_end1-_ZN7rocprim17ROCPRIM_400000_NS6detail17trampoline_kernelINS0_14default_configENS1_22reduce_config_selectorIiEEZNS1_11reduce_implILb1ES3_PiS7_iN6thrust23THRUST_200600_302600_NS4plusIiEEEE10hipError_tPvRmT1_T2_T3_mT4_P12ihipStream_tbEUlT_E0_NS1_11comp_targetILNS1_3genE5ELNS1_11target_archE942ELNS1_3gpuE9ELNS1_3repE0EEENS1_30default_config_static_selectorELNS0_4arch9wavefront6targetE1EEEvSF_
                                        ; -- End function
	.section	.AMDGPU.csdata,"",@progbits
; Kernel info:
; codeLenInByte = 0
; NumSgprs: 4
; NumVgprs: 0
; NumAgprs: 0
; TotalNumVgprs: 0
; ScratchSize: 0
; MemoryBound: 0
; FloatMode: 240
; IeeeMode: 1
; LDSByteSize: 0 bytes/workgroup (compile time only)
; SGPRBlocks: 0
; VGPRBlocks: 0
; NumSGPRsForWavesPerEU: 4
; NumVGPRsForWavesPerEU: 1
; AccumOffset: 4
; Occupancy: 8
; WaveLimiterHint : 0
; COMPUTE_PGM_RSRC2:SCRATCH_EN: 0
; COMPUTE_PGM_RSRC2:USER_SGPR: 6
; COMPUTE_PGM_RSRC2:TRAP_HANDLER: 0
; COMPUTE_PGM_RSRC2:TGID_X_EN: 1
; COMPUTE_PGM_RSRC2:TGID_Y_EN: 0
; COMPUTE_PGM_RSRC2:TGID_Z_EN: 0
; COMPUTE_PGM_RSRC2:TIDIG_COMP_CNT: 0
; COMPUTE_PGM_RSRC3_GFX90A:ACCUM_OFFSET: 0
; COMPUTE_PGM_RSRC3_GFX90A:TG_SPLIT: 0
	.section	.text._ZN7rocprim17ROCPRIM_400000_NS6detail17trampoline_kernelINS0_14default_configENS1_22reduce_config_selectorIiEEZNS1_11reduce_implILb1ES3_PiS7_iN6thrust23THRUST_200600_302600_NS4plusIiEEEE10hipError_tPvRmT1_T2_T3_mT4_P12ihipStream_tbEUlT_E0_NS1_11comp_targetILNS1_3genE4ELNS1_11target_archE910ELNS1_3gpuE8ELNS1_3repE0EEENS1_30default_config_static_selectorELNS0_4arch9wavefront6targetE1EEEvSF_,"axG",@progbits,_ZN7rocprim17ROCPRIM_400000_NS6detail17trampoline_kernelINS0_14default_configENS1_22reduce_config_selectorIiEEZNS1_11reduce_implILb1ES3_PiS7_iN6thrust23THRUST_200600_302600_NS4plusIiEEEE10hipError_tPvRmT1_T2_T3_mT4_P12ihipStream_tbEUlT_E0_NS1_11comp_targetILNS1_3genE4ELNS1_11target_archE910ELNS1_3gpuE8ELNS1_3repE0EEENS1_30default_config_static_selectorELNS0_4arch9wavefront6targetE1EEEvSF_,comdat
	.protected	_ZN7rocprim17ROCPRIM_400000_NS6detail17trampoline_kernelINS0_14default_configENS1_22reduce_config_selectorIiEEZNS1_11reduce_implILb1ES3_PiS7_iN6thrust23THRUST_200600_302600_NS4plusIiEEEE10hipError_tPvRmT1_T2_T3_mT4_P12ihipStream_tbEUlT_E0_NS1_11comp_targetILNS1_3genE4ELNS1_11target_archE910ELNS1_3gpuE8ELNS1_3repE0EEENS1_30default_config_static_selectorELNS0_4arch9wavefront6targetE1EEEvSF_ ; -- Begin function _ZN7rocprim17ROCPRIM_400000_NS6detail17trampoline_kernelINS0_14default_configENS1_22reduce_config_selectorIiEEZNS1_11reduce_implILb1ES3_PiS7_iN6thrust23THRUST_200600_302600_NS4plusIiEEEE10hipError_tPvRmT1_T2_T3_mT4_P12ihipStream_tbEUlT_E0_NS1_11comp_targetILNS1_3genE4ELNS1_11target_archE910ELNS1_3gpuE8ELNS1_3repE0EEENS1_30default_config_static_selectorELNS0_4arch9wavefront6targetE1EEEvSF_
	.globl	_ZN7rocprim17ROCPRIM_400000_NS6detail17trampoline_kernelINS0_14default_configENS1_22reduce_config_selectorIiEEZNS1_11reduce_implILb1ES3_PiS7_iN6thrust23THRUST_200600_302600_NS4plusIiEEEE10hipError_tPvRmT1_T2_T3_mT4_P12ihipStream_tbEUlT_E0_NS1_11comp_targetILNS1_3genE4ELNS1_11target_archE910ELNS1_3gpuE8ELNS1_3repE0EEENS1_30default_config_static_selectorELNS0_4arch9wavefront6targetE1EEEvSF_
	.p2align	8
	.type	_ZN7rocprim17ROCPRIM_400000_NS6detail17trampoline_kernelINS0_14default_configENS1_22reduce_config_selectorIiEEZNS1_11reduce_implILb1ES3_PiS7_iN6thrust23THRUST_200600_302600_NS4plusIiEEEE10hipError_tPvRmT1_T2_T3_mT4_P12ihipStream_tbEUlT_E0_NS1_11comp_targetILNS1_3genE4ELNS1_11target_archE910ELNS1_3gpuE8ELNS1_3repE0EEENS1_30default_config_static_selectorELNS0_4arch9wavefront6targetE1EEEvSF_,@function
_ZN7rocprim17ROCPRIM_400000_NS6detail17trampoline_kernelINS0_14default_configENS1_22reduce_config_selectorIiEEZNS1_11reduce_implILb1ES3_PiS7_iN6thrust23THRUST_200600_302600_NS4plusIiEEEE10hipError_tPvRmT1_T2_T3_mT4_P12ihipStream_tbEUlT_E0_NS1_11comp_targetILNS1_3genE4ELNS1_11target_archE910ELNS1_3gpuE8ELNS1_3repE0EEENS1_30default_config_static_selectorELNS0_4arch9wavefront6targetE1EEEvSF_: ; @_ZN7rocprim17ROCPRIM_400000_NS6detail17trampoline_kernelINS0_14default_configENS1_22reduce_config_selectorIiEEZNS1_11reduce_implILb1ES3_PiS7_iN6thrust23THRUST_200600_302600_NS4plusIiEEEE10hipError_tPvRmT1_T2_T3_mT4_P12ihipStream_tbEUlT_E0_NS1_11comp_targetILNS1_3genE4ELNS1_11target_archE910ELNS1_3gpuE8ELNS1_3repE0EEENS1_30default_config_static_selectorELNS0_4arch9wavefront6targetE1EEEvSF_
; %bb.0:
	s_load_dwordx8 s[12:19], s[4:5], 0x0
	s_load_dwordx4 s[20:23], s[4:5], 0x20
	v_lshlrev_b32_e32 v10, 2, v0
	v_mbcnt_lo_u32_b32 v1, -1, 0
	s_waitcnt lgkmcnt(0)
	s_lshl_b64 s[0:1], s[14:15], 2
	s_add_u32 s10, s12, s0
	s_addc_u32 s11, s13, s1
	s_lshl_b32 s0, s6, 10
	s_mov_b32 s1, 0
	s_lshr_b64 s[2:3], s[16:17], 10
	s_lshl_b64 s[8:9], s[0:1], 2
	s_add_u32 s14, s10, s8
	s_mov_b32 s7, s1
	s_addc_u32 s15, s11, s9
	s_cmp_lg_u64 s[2:3], s[6:7]
	s_cbranch_scc0 .LBB2_6
; %bb.1:
	global_load_dword v2, v10, s[14:15]
	global_load_dword v5, v10, s[14:15] offset:512
	global_load_dword v6, v10, s[14:15] offset:1024
	;; [unrolled: 1-line block ×7, first 2 shown]
	v_mbcnt_hi_u32_b32 v3, -1, v1
	v_lshlrev_b32_e32 v4, 2, v3
	v_cmp_eq_u32_e32 vcc, 0, v3
	s_waitcnt vmcnt(6)
	v_add_u32_e32 v2, v5, v2
	v_or_b32_e32 v5, 0xfc, v4
	s_waitcnt vmcnt(4)
	v_add3_u32 v2, v2, v6, v7
	s_waitcnt vmcnt(2)
	v_add3_u32 v2, v2, v8, v9
	;; [unrolled: 2-line block ×3, first 2 shown]
	s_nop 1
	v_add_u32_dpp v2, v2, v2 quad_perm:[1,0,3,2] row_mask:0xf bank_mask:0xf bound_ctrl:1
	s_nop 1
	v_add_u32_dpp v2, v2, v2 quad_perm:[2,3,0,1] row_mask:0xf bank_mask:0xf bound_ctrl:1
	s_nop 1
	v_add_u32_dpp v2, v2, v2 row_ror:4 row_mask:0xf bank_mask:0xf bound_ctrl:1
	s_nop 1
	v_add_u32_dpp v2, v2, v2 row_ror:8 row_mask:0xf bank_mask:0xf bound_ctrl:1
	s_nop 1
	v_add_u32_dpp v2, v2, v2 row_bcast:15 row_mask:0xf bank_mask:0xf bound_ctrl:1
	s_nop 1
	v_add_u32_dpp v2, v2, v2 row_bcast:31 row_mask:0xf bank_mask:0xf bound_ctrl:1
	ds_bpermute_b32 v2, v5, v2
	s_and_saveexec_b64 s[2:3], vcc
	s_cbranch_execz .LBB2_3
; %bb.2:
	v_lshrrev_b32_e32 v5, 4, v0
	v_and_b32_e32 v5, 4, v5
	s_waitcnt lgkmcnt(0)
	ds_write_b32 v5, v2
.LBB2_3:
	s_or_b64 exec, exec, s[2:3]
	v_cmp_gt_u32_e32 vcc, 64, v0
	s_waitcnt lgkmcnt(0)
	s_barrier
	s_and_saveexec_b64 s[2:3], vcc
	s_cbranch_execz .LBB2_5
; %bb.4:
	v_and_b32_e32 v2, 1, v3
	v_lshlrev_b32_e32 v2, 2, v2
	ds_read_b32 v2, v2
	v_or_b32_e32 v3, 4, v4
	s_waitcnt lgkmcnt(0)
	ds_bpermute_b32 v3, v3, v2
	s_waitcnt lgkmcnt(0)
	v_add_u32_e32 v2, v3, v2
.LBB2_5:
	s_or_b64 exec, exec, s[2:3]
	s_load_dword s26, s[4:5], 0x30
	s_branch .LBB2_28
.LBB2_6:
                                        ; implicit-def: $vgpr2
	s_load_dword s26, s[4:5], 0x30
	s_cbranch_execz .LBB2_28
; %bb.7:
	s_sub_i32 s27, s16, s0
	v_cmp_gt_u32_e32 vcc, s27, v0
                                        ; implicit-def: $vgpr2_vgpr3_vgpr4_vgpr5_vgpr6_vgpr7_vgpr8_vgpr9
	s_and_saveexec_b64 s[0:1], vcc
	s_cbranch_execz .LBB2_9
; %bb.8:
	global_load_dword v2, v10, s[14:15]
.LBB2_9:
	s_or_b64 exec, exec, s[0:1]
	v_or_b32_e32 v11, 0x80, v0
	v_cmp_gt_u32_e32 vcc, s27, v11
	s_and_saveexec_b64 s[0:1], vcc
	s_cbranch_execz .LBB2_11
; %bb.10:
	global_load_dword v3, v10, s[14:15] offset:512
.LBB2_11:
	s_or_b64 exec, exec, s[0:1]
	v_or_b32_e32 v11, 0x100, v0
	v_cmp_gt_u32_e64 s[0:1], s27, v11
	s_and_saveexec_b64 s[2:3], s[0:1]
	s_cbranch_execz .LBB2_13
; %bb.12:
	global_load_dword v4, v10, s[14:15] offset:1024
.LBB2_13:
	s_or_b64 exec, exec, s[2:3]
	v_or_b32_e32 v11, 0x180, v0
	v_cmp_gt_u32_e64 s[2:3], s27, v11
	s_and_saveexec_b64 s[4:5], s[2:3]
	s_cbranch_execz .LBB2_15
; %bb.14:
	global_load_dword v5, v10, s[14:15] offset:1536
.LBB2_15:
	s_or_b64 exec, exec, s[4:5]
	v_or_b32_e32 v11, 0x200, v0
	v_cmp_gt_u32_e64 s[4:5], s27, v11
	s_and_saveexec_b64 s[8:9], s[4:5]
	s_cbranch_execz .LBB2_17
; %bb.16:
	global_load_dword v6, v10, s[14:15] offset:2048
.LBB2_17:
	s_or_b64 exec, exec, s[8:9]
	v_or_b32_e32 v11, 0x280, v0
	v_cmp_gt_u32_e64 s[8:9], s27, v11
	s_and_saveexec_b64 s[10:11], s[8:9]
	s_cbranch_execz .LBB2_19
; %bb.18:
	global_load_dword v7, v10, s[14:15] offset:2560
.LBB2_19:
	s_or_b64 exec, exec, s[10:11]
	v_or_b32_e32 v11, 0x300, v0
	v_cmp_gt_u32_e64 s[10:11], s27, v11
	s_and_saveexec_b64 s[12:13], s[10:11]
	s_cbranch_execz .LBB2_21
; %bb.20:
	global_load_dword v8, v10, s[14:15] offset:3072
.LBB2_21:
	s_or_b64 exec, exec, s[12:13]
	v_or_b32_e32 v11, 0x380, v0
	v_cmp_gt_u32_e64 s[12:13], s27, v11
	s_and_saveexec_b64 s[24:25], s[12:13]
	s_cbranch_execz .LBB2_23
; %bb.22:
	global_load_dword v9, v10, s[14:15] offset:3584
.LBB2_23:
	s_or_b64 exec, exec, s[24:25]
	s_waitcnt vmcnt(0)
	v_cndmask_b32_e32 v3, 0, v3, vcc
	v_add_u32_e32 v2, v3, v2
	v_cndmask_b32_e64 v3, 0, v4, s[0:1]
	v_cndmask_b32_e64 v4, 0, v5, s[2:3]
	v_add3_u32 v2, v2, v3, v4
	v_cndmask_b32_e64 v3, 0, v6, s[4:5]
	v_cndmask_b32_e64 v4, 0, v7, s[8:9]
	v_add3_u32 v2, v2, v3, v4
	v_cndmask_b32_e64 v3, 0, v8, s[10:11]
	v_cndmask_b32_e64 v4, 0, v9, s[12:13]
	v_mbcnt_hi_u32_b32 v1, -1, v1
	v_add3_u32 v2, v2, v3, v4
	v_and_b32_e32 v3, 63, v1
	v_cmp_ne_u32_e32 vcc, 63, v3
	v_addc_co_u32_e32 v4, vcc, 0, v1, vcc
	v_lshlrev_b32_e32 v4, 2, v4
	ds_bpermute_b32 v4, v4, v2
	s_min_u32 s2, s27, 0x80
	v_and_b32_e32 v5, 64, v0
	v_sub_u32_e64 v5, s2, v5 clamp
	v_add_u32_e32 v6, 1, v3
	v_cmp_lt_u32_e32 vcc, v6, v5
	s_waitcnt lgkmcnt(0)
	v_cndmask_b32_e32 v4, 0, v4, vcc
	v_cmp_gt_u32_e32 vcc, 62, v3
	v_add_u32_e32 v2, v2, v4
	v_cndmask_b32_e64 v4, 0, 1, vcc
	v_lshlrev_b32_e32 v4, 1, v4
	v_add_lshl_u32 v4, v4, v1, 2
	ds_bpermute_b32 v4, v4, v2
	v_add_u32_e32 v6, 2, v3
	v_cmp_lt_u32_e32 vcc, v6, v5
	v_add_u32_e32 v6, 4, v3
	s_waitcnt lgkmcnt(0)
	v_cndmask_b32_e32 v4, 0, v4, vcc
	v_cmp_gt_u32_e32 vcc, 60, v3
	v_add_u32_e32 v2, v2, v4
	v_cndmask_b32_e64 v4, 0, 1, vcc
	v_lshlrev_b32_e32 v4, 2, v4
	v_add_lshl_u32 v4, v4, v1, 2
	ds_bpermute_b32 v4, v4, v2
	v_cmp_lt_u32_e32 vcc, v6, v5
	v_add_u32_e32 v6, 8, v3
	s_waitcnt lgkmcnt(0)
	v_cndmask_b32_e32 v4, 0, v4, vcc
	v_cmp_gt_u32_e32 vcc, 56, v3
	v_add_u32_e32 v2, v2, v4
	v_cndmask_b32_e64 v4, 0, 1, vcc
	v_lshlrev_b32_e32 v4, 3, v4
	v_add_lshl_u32 v4, v4, v1, 2
	ds_bpermute_b32 v4, v4, v2
	;; [unrolled: 10-line block ×3, first 2 shown]
	v_cmp_lt_u32_e32 vcc, v6, v5
	s_waitcnt lgkmcnt(0)
	v_cndmask_b32_e32 v4, 0, v4, vcc
	v_cmp_gt_u32_e32 vcc, 32, v3
	v_add_u32_e32 v2, v2, v4
	v_cndmask_b32_e64 v4, 0, 1, vcc
	v_lshlrev_b32_e32 v4, 5, v4
	v_add_lshl_u32 v4, v4, v1, 2
	ds_bpermute_b32 v4, v4, v2
	v_add_u32_e32 v3, 32, v3
	v_cmp_lt_u32_e32 vcc, v3, v5
	s_waitcnt lgkmcnt(0)
	v_cndmask_b32_e32 v3, 0, v4, vcc
	v_add_u32_e32 v2, v2, v3
	v_cmp_eq_u32_e32 vcc, 0, v1
	s_and_saveexec_b64 s[0:1], vcc
	s_cbranch_execz .LBB2_25
; %bb.24:
	v_lshrrev_b32_e32 v3, 4, v0
	v_and_b32_e32 v3, 4, v3
	ds_write_b32 v3, v2 offset:8
.LBB2_25:
	s_or_b64 exec, exec, s[0:1]
	v_cmp_gt_u32_e32 vcc, 2, v0
	s_waitcnt lgkmcnt(0)
	s_barrier
	s_and_saveexec_b64 s[0:1], vcc
	s_cbranch_execz .LBB2_27
; %bb.26:
	v_lshlrev_b32_e32 v2, 2, v1
	ds_read_b32 v3, v2 offset:8
	v_or_b32_e32 v2, 4, v2
	s_add_i32 s2, s2, 63
	v_and_b32_e32 v1, 1, v1
	s_lshr_b32 s2, s2, 6
	s_waitcnt lgkmcnt(0)
	ds_bpermute_b32 v2, v2, v3
	v_add_u32_e32 v1, 1, v1
	v_cmp_gt_u32_e32 vcc, s2, v1
	s_waitcnt lgkmcnt(0)
	v_cndmask_b32_e32 v1, 0, v2, vcc
	v_add_u32_e32 v2, v1, v3
.LBB2_27:
	s_or_b64 exec, exec, s[0:1]
.LBB2_28:
	v_cmp_eq_u32_e32 vcc, 0, v0
	s_and_saveexec_b64 s[0:1], vcc
	s_cbranch_execnz .LBB2_30
; %bb.29:
	s_endpgm
.LBB2_30:
	s_mul_i32 s0, s22, s21
	s_mul_hi_u32 s1, s22, s20
	s_add_i32 s0, s1, s0
	s_mul_i32 s1, s23, s20
	s_add_i32 s1, s0, s1
	s_mul_i32 s0, s22, s20
	s_lshl_b64 s[0:1], s[0:1], 2
	s_add_u32 s2, s18, s0
	s_addc_u32 s3, s19, s1
	s_cmp_eq_u64 s[16:17], 0
	s_cselect_b64 vcc, -1, 0
	s_lshl_b64 s[0:1], s[6:7], 2
	s_waitcnt lgkmcnt(0)
	v_mov_b32_e32 v0, s26
	s_add_u32 s0, s2, s0
	v_cndmask_b32_e32 v0, v2, v0, vcc
	s_addc_u32 s1, s3, s1
	v_mov_b32_e32 v1, 0
	global_store_dword v1, v0, s[0:1]
	s_endpgm
	.section	.rodata,"a",@progbits
	.p2align	6, 0x0
	.amdhsa_kernel _ZN7rocprim17ROCPRIM_400000_NS6detail17trampoline_kernelINS0_14default_configENS1_22reduce_config_selectorIiEEZNS1_11reduce_implILb1ES3_PiS7_iN6thrust23THRUST_200600_302600_NS4plusIiEEEE10hipError_tPvRmT1_T2_T3_mT4_P12ihipStream_tbEUlT_E0_NS1_11comp_targetILNS1_3genE4ELNS1_11target_archE910ELNS1_3gpuE8ELNS1_3repE0EEENS1_30default_config_static_selectorELNS0_4arch9wavefront6targetE1EEEvSF_
		.amdhsa_group_segment_fixed_size 16
		.amdhsa_private_segment_fixed_size 0
		.amdhsa_kernarg_size 56
		.amdhsa_user_sgpr_count 6
		.amdhsa_user_sgpr_private_segment_buffer 1
		.amdhsa_user_sgpr_dispatch_ptr 0
		.amdhsa_user_sgpr_queue_ptr 0
		.amdhsa_user_sgpr_kernarg_segment_ptr 1
		.amdhsa_user_sgpr_dispatch_id 0
		.amdhsa_user_sgpr_flat_scratch_init 0
		.amdhsa_user_sgpr_kernarg_preload_length 0
		.amdhsa_user_sgpr_kernarg_preload_offset 0
		.amdhsa_user_sgpr_private_segment_size 0
		.amdhsa_uses_dynamic_stack 0
		.amdhsa_system_sgpr_private_segment_wavefront_offset 0
		.amdhsa_system_sgpr_workgroup_id_x 1
		.amdhsa_system_sgpr_workgroup_id_y 0
		.amdhsa_system_sgpr_workgroup_id_z 0
		.amdhsa_system_sgpr_workgroup_info 0
		.amdhsa_system_vgpr_workitem_id 0
		.amdhsa_next_free_vgpr 13
		.amdhsa_next_free_sgpr 28
		.amdhsa_accum_offset 16
		.amdhsa_reserve_vcc 1
		.amdhsa_reserve_flat_scratch 0
		.amdhsa_float_round_mode_32 0
		.amdhsa_float_round_mode_16_64 0
		.amdhsa_float_denorm_mode_32 3
		.amdhsa_float_denorm_mode_16_64 3
		.amdhsa_dx10_clamp 1
		.amdhsa_ieee_mode 1
		.amdhsa_fp16_overflow 0
		.amdhsa_tg_split 0
		.amdhsa_exception_fp_ieee_invalid_op 0
		.amdhsa_exception_fp_denorm_src 0
		.amdhsa_exception_fp_ieee_div_zero 0
		.amdhsa_exception_fp_ieee_overflow 0
		.amdhsa_exception_fp_ieee_underflow 0
		.amdhsa_exception_fp_ieee_inexact 0
		.amdhsa_exception_int_div_zero 0
	.end_amdhsa_kernel
	.section	.text._ZN7rocprim17ROCPRIM_400000_NS6detail17trampoline_kernelINS0_14default_configENS1_22reduce_config_selectorIiEEZNS1_11reduce_implILb1ES3_PiS7_iN6thrust23THRUST_200600_302600_NS4plusIiEEEE10hipError_tPvRmT1_T2_T3_mT4_P12ihipStream_tbEUlT_E0_NS1_11comp_targetILNS1_3genE4ELNS1_11target_archE910ELNS1_3gpuE8ELNS1_3repE0EEENS1_30default_config_static_selectorELNS0_4arch9wavefront6targetE1EEEvSF_,"axG",@progbits,_ZN7rocprim17ROCPRIM_400000_NS6detail17trampoline_kernelINS0_14default_configENS1_22reduce_config_selectorIiEEZNS1_11reduce_implILb1ES3_PiS7_iN6thrust23THRUST_200600_302600_NS4plusIiEEEE10hipError_tPvRmT1_T2_T3_mT4_P12ihipStream_tbEUlT_E0_NS1_11comp_targetILNS1_3genE4ELNS1_11target_archE910ELNS1_3gpuE8ELNS1_3repE0EEENS1_30default_config_static_selectorELNS0_4arch9wavefront6targetE1EEEvSF_,comdat
.Lfunc_end2:
	.size	_ZN7rocprim17ROCPRIM_400000_NS6detail17trampoline_kernelINS0_14default_configENS1_22reduce_config_selectorIiEEZNS1_11reduce_implILb1ES3_PiS7_iN6thrust23THRUST_200600_302600_NS4plusIiEEEE10hipError_tPvRmT1_T2_T3_mT4_P12ihipStream_tbEUlT_E0_NS1_11comp_targetILNS1_3genE4ELNS1_11target_archE910ELNS1_3gpuE8ELNS1_3repE0EEENS1_30default_config_static_selectorELNS0_4arch9wavefront6targetE1EEEvSF_, .Lfunc_end2-_ZN7rocprim17ROCPRIM_400000_NS6detail17trampoline_kernelINS0_14default_configENS1_22reduce_config_selectorIiEEZNS1_11reduce_implILb1ES3_PiS7_iN6thrust23THRUST_200600_302600_NS4plusIiEEEE10hipError_tPvRmT1_T2_T3_mT4_P12ihipStream_tbEUlT_E0_NS1_11comp_targetILNS1_3genE4ELNS1_11target_archE910ELNS1_3gpuE8ELNS1_3repE0EEENS1_30default_config_static_selectorELNS0_4arch9wavefront6targetE1EEEvSF_
                                        ; -- End function
	.section	.AMDGPU.csdata,"",@progbits
; Kernel info:
; codeLenInByte = 1320
; NumSgprs: 32
; NumVgprs: 13
; NumAgprs: 0
; TotalNumVgprs: 13
; ScratchSize: 0
; MemoryBound: 0
; FloatMode: 240
; IeeeMode: 1
; LDSByteSize: 16 bytes/workgroup (compile time only)
; SGPRBlocks: 3
; VGPRBlocks: 1
; NumSGPRsForWavesPerEU: 32
; NumVGPRsForWavesPerEU: 13
; AccumOffset: 16
; Occupancy: 8
; WaveLimiterHint : 1
; COMPUTE_PGM_RSRC2:SCRATCH_EN: 0
; COMPUTE_PGM_RSRC2:USER_SGPR: 6
; COMPUTE_PGM_RSRC2:TRAP_HANDLER: 0
; COMPUTE_PGM_RSRC2:TGID_X_EN: 1
; COMPUTE_PGM_RSRC2:TGID_Y_EN: 0
; COMPUTE_PGM_RSRC2:TGID_Z_EN: 0
; COMPUTE_PGM_RSRC2:TIDIG_COMP_CNT: 0
; COMPUTE_PGM_RSRC3_GFX90A:ACCUM_OFFSET: 3
; COMPUTE_PGM_RSRC3_GFX90A:TG_SPLIT: 0
	.section	.text._ZN7rocprim17ROCPRIM_400000_NS6detail17trampoline_kernelINS0_14default_configENS1_22reduce_config_selectorIiEEZNS1_11reduce_implILb1ES3_PiS7_iN6thrust23THRUST_200600_302600_NS4plusIiEEEE10hipError_tPvRmT1_T2_T3_mT4_P12ihipStream_tbEUlT_E0_NS1_11comp_targetILNS1_3genE3ELNS1_11target_archE908ELNS1_3gpuE7ELNS1_3repE0EEENS1_30default_config_static_selectorELNS0_4arch9wavefront6targetE1EEEvSF_,"axG",@progbits,_ZN7rocprim17ROCPRIM_400000_NS6detail17trampoline_kernelINS0_14default_configENS1_22reduce_config_selectorIiEEZNS1_11reduce_implILb1ES3_PiS7_iN6thrust23THRUST_200600_302600_NS4plusIiEEEE10hipError_tPvRmT1_T2_T3_mT4_P12ihipStream_tbEUlT_E0_NS1_11comp_targetILNS1_3genE3ELNS1_11target_archE908ELNS1_3gpuE7ELNS1_3repE0EEENS1_30default_config_static_selectorELNS0_4arch9wavefront6targetE1EEEvSF_,comdat
	.protected	_ZN7rocprim17ROCPRIM_400000_NS6detail17trampoline_kernelINS0_14default_configENS1_22reduce_config_selectorIiEEZNS1_11reduce_implILb1ES3_PiS7_iN6thrust23THRUST_200600_302600_NS4plusIiEEEE10hipError_tPvRmT1_T2_T3_mT4_P12ihipStream_tbEUlT_E0_NS1_11comp_targetILNS1_3genE3ELNS1_11target_archE908ELNS1_3gpuE7ELNS1_3repE0EEENS1_30default_config_static_selectorELNS0_4arch9wavefront6targetE1EEEvSF_ ; -- Begin function _ZN7rocprim17ROCPRIM_400000_NS6detail17trampoline_kernelINS0_14default_configENS1_22reduce_config_selectorIiEEZNS1_11reduce_implILb1ES3_PiS7_iN6thrust23THRUST_200600_302600_NS4plusIiEEEE10hipError_tPvRmT1_T2_T3_mT4_P12ihipStream_tbEUlT_E0_NS1_11comp_targetILNS1_3genE3ELNS1_11target_archE908ELNS1_3gpuE7ELNS1_3repE0EEENS1_30default_config_static_selectorELNS0_4arch9wavefront6targetE1EEEvSF_
	.globl	_ZN7rocprim17ROCPRIM_400000_NS6detail17trampoline_kernelINS0_14default_configENS1_22reduce_config_selectorIiEEZNS1_11reduce_implILb1ES3_PiS7_iN6thrust23THRUST_200600_302600_NS4plusIiEEEE10hipError_tPvRmT1_T2_T3_mT4_P12ihipStream_tbEUlT_E0_NS1_11comp_targetILNS1_3genE3ELNS1_11target_archE908ELNS1_3gpuE7ELNS1_3repE0EEENS1_30default_config_static_selectorELNS0_4arch9wavefront6targetE1EEEvSF_
	.p2align	8
	.type	_ZN7rocprim17ROCPRIM_400000_NS6detail17trampoline_kernelINS0_14default_configENS1_22reduce_config_selectorIiEEZNS1_11reduce_implILb1ES3_PiS7_iN6thrust23THRUST_200600_302600_NS4plusIiEEEE10hipError_tPvRmT1_T2_T3_mT4_P12ihipStream_tbEUlT_E0_NS1_11comp_targetILNS1_3genE3ELNS1_11target_archE908ELNS1_3gpuE7ELNS1_3repE0EEENS1_30default_config_static_selectorELNS0_4arch9wavefront6targetE1EEEvSF_,@function
_ZN7rocprim17ROCPRIM_400000_NS6detail17trampoline_kernelINS0_14default_configENS1_22reduce_config_selectorIiEEZNS1_11reduce_implILb1ES3_PiS7_iN6thrust23THRUST_200600_302600_NS4plusIiEEEE10hipError_tPvRmT1_T2_T3_mT4_P12ihipStream_tbEUlT_E0_NS1_11comp_targetILNS1_3genE3ELNS1_11target_archE908ELNS1_3gpuE7ELNS1_3repE0EEENS1_30default_config_static_selectorELNS0_4arch9wavefront6targetE1EEEvSF_: ; @_ZN7rocprim17ROCPRIM_400000_NS6detail17trampoline_kernelINS0_14default_configENS1_22reduce_config_selectorIiEEZNS1_11reduce_implILb1ES3_PiS7_iN6thrust23THRUST_200600_302600_NS4plusIiEEEE10hipError_tPvRmT1_T2_T3_mT4_P12ihipStream_tbEUlT_E0_NS1_11comp_targetILNS1_3genE3ELNS1_11target_archE908ELNS1_3gpuE7ELNS1_3repE0EEENS1_30default_config_static_selectorELNS0_4arch9wavefront6targetE1EEEvSF_
; %bb.0:
	.section	.rodata,"a",@progbits
	.p2align	6, 0x0
	.amdhsa_kernel _ZN7rocprim17ROCPRIM_400000_NS6detail17trampoline_kernelINS0_14default_configENS1_22reduce_config_selectorIiEEZNS1_11reduce_implILb1ES3_PiS7_iN6thrust23THRUST_200600_302600_NS4plusIiEEEE10hipError_tPvRmT1_T2_T3_mT4_P12ihipStream_tbEUlT_E0_NS1_11comp_targetILNS1_3genE3ELNS1_11target_archE908ELNS1_3gpuE7ELNS1_3repE0EEENS1_30default_config_static_selectorELNS0_4arch9wavefront6targetE1EEEvSF_
		.amdhsa_group_segment_fixed_size 0
		.amdhsa_private_segment_fixed_size 0
		.amdhsa_kernarg_size 56
		.amdhsa_user_sgpr_count 6
		.amdhsa_user_sgpr_private_segment_buffer 1
		.amdhsa_user_sgpr_dispatch_ptr 0
		.amdhsa_user_sgpr_queue_ptr 0
		.amdhsa_user_sgpr_kernarg_segment_ptr 1
		.amdhsa_user_sgpr_dispatch_id 0
		.amdhsa_user_sgpr_flat_scratch_init 0
		.amdhsa_user_sgpr_kernarg_preload_length 0
		.amdhsa_user_sgpr_kernarg_preload_offset 0
		.amdhsa_user_sgpr_private_segment_size 0
		.amdhsa_uses_dynamic_stack 0
		.amdhsa_system_sgpr_private_segment_wavefront_offset 0
		.amdhsa_system_sgpr_workgroup_id_x 1
		.amdhsa_system_sgpr_workgroup_id_y 0
		.amdhsa_system_sgpr_workgroup_id_z 0
		.amdhsa_system_sgpr_workgroup_info 0
		.amdhsa_system_vgpr_workitem_id 0
		.amdhsa_next_free_vgpr 1
		.amdhsa_next_free_sgpr 0
		.amdhsa_accum_offset 4
		.amdhsa_reserve_vcc 0
		.amdhsa_reserve_flat_scratch 0
		.amdhsa_float_round_mode_32 0
		.amdhsa_float_round_mode_16_64 0
		.amdhsa_float_denorm_mode_32 3
		.amdhsa_float_denorm_mode_16_64 3
		.amdhsa_dx10_clamp 1
		.amdhsa_ieee_mode 1
		.amdhsa_fp16_overflow 0
		.amdhsa_tg_split 0
		.amdhsa_exception_fp_ieee_invalid_op 0
		.amdhsa_exception_fp_denorm_src 0
		.amdhsa_exception_fp_ieee_div_zero 0
		.amdhsa_exception_fp_ieee_overflow 0
		.amdhsa_exception_fp_ieee_underflow 0
		.amdhsa_exception_fp_ieee_inexact 0
		.amdhsa_exception_int_div_zero 0
	.end_amdhsa_kernel
	.section	.text._ZN7rocprim17ROCPRIM_400000_NS6detail17trampoline_kernelINS0_14default_configENS1_22reduce_config_selectorIiEEZNS1_11reduce_implILb1ES3_PiS7_iN6thrust23THRUST_200600_302600_NS4plusIiEEEE10hipError_tPvRmT1_T2_T3_mT4_P12ihipStream_tbEUlT_E0_NS1_11comp_targetILNS1_3genE3ELNS1_11target_archE908ELNS1_3gpuE7ELNS1_3repE0EEENS1_30default_config_static_selectorELNS0_4arch9wavefront6targetE1EEEvSF_,"axG",@progbits,_ZN7rocprim17ROCPRIM_400000_NS6detail17trampoline_kernelINS0_14default_configENS1_22reduce_config_selectorIiEEZNS1_11reduce_implILb1ES3_PiS7_iN6thrust23THRUST_200600_302600_NS4plusIiEEEE10hipError_tPvRmT1_T2_T3_mT4_P12ihipStream_tbEUlT_E0_NS1_11comp_targetILNS1_3genE3ELNS1_11target_archE908ELNS1_3gpuE7ELNS1_3repE0EEENS1_30default_config_static_selectorELNS0_4arch9wavefront6targetE1EEEvSF_,comdat
.Lfunc_end3:
	.size	_ZN7rocprim17ROCPRIM_400000_NS6detail17trampoline_kernelINS0_14default_configENS1_22reduce_config_selectorIiEEZNS1_11reduce_implILb1ES3_PiS7_iN6thrust23THRUST_200600_302600_NS4plusIiEEEE10hipError_tPvRmT1_T2_T3_mT4_P12ihipStream_tbEUlT_E0_NS1_11comp_targetILNS1_3genE3ELNS1_11target_archE908ELNS1_3gpuE7ELNS1_3repE0EEENS1_30default_config_static_selectorELNS0_4arch9wavefront6targetE1EEEvSF_, .Lfunc_end3-_ZN7rocprim17ROCPRIM_400000_NS6detail17trampoline_kernelINS0_14default_configENS1_22reduce_config_selectorIiEEZNS1_11reduce_implILb1ES3_PiS7_iN6thrust23THRUST_200600_302600_NS4plusIiEEEE10hipError_tPvRmT1_T2_T3_mT4_P12ihipStream_tbEUlT_E0_NS1_11comp_targetILNS1_3genE3ELNS1_11target_archE908ELNS1_3gpuE7ELNS1_3repE0EEENS1_30default_config_static_selectorELNS0_4arch9wavefront6targetE1EEEvSF_
                                        ; -- End function
	.section	.AMDGPU.csdata,"",@progbits
; Kernel info:
; codeLenInByte = 0
; NumSgprs: 4
; NumVgprs: 0
; NumAgprs: 0
; TotalNumVgprs: 0
; ScratchSize: 0
; MemoryBound: 0
; FloatMode: 240
; IeeeMode: 1
; LDSByteSize: 0 bytes/workgroup (compile time only)
; SGPRBlocks: 0
; VGPRBlocks: 0
; NumSGPRsForWavesPerEU: 4
; NumVGPRsForWavesPerEU: 1
; AccumOffset: 4
; Occupancy: 8
; WaveLimiterHint : 0
; COMPUTE_PGM_RSRC2:SCRATCH_EN: 0
; COMPUTE_PGM_RSRC2:USER_SGPR: 6
; COMPUTE_PGM_RSRC2:TRAP_HANDLER: 0
; COMPUTE_PGM_RSRC2:TGID_X_EN: 1
; COMPUTE_PGM_RSRC2:TGID_Y_EN: 0
; COMPUTE_PGM_RSRC2:TGID_Z_EN: 0
; COMPUTE_PGM_RSRC2:TIDIG_COMP_CNT: 0
; COMPUTE_PGM_RSRC3_GFX90A:ACCUM_OFFSET: 0
; COMPUTE_PGM_RSRC3_GFX90A:TG_SPLIT: 0
	.section	.text._ZN7rocprim17ROCPRIM_400000_NS6detail17trampoline_kernelINS0_14default_configENS1_22reduce_config_selectorIiEEZNS1_11reduce_implILb1ES3_PiS7_iN6thrust23THRUST_200600_302600_NS4plusIiEEEE10hipError_tPvRmT1_T2_T3_mT4_P12ihipStream_tbEUlT_E0_NS1_11comp_targetILNS1_3genE2ELNS1_11target_archE906ELNS1_3gpuE6ELNS1_3repE0EEENS1_30default_config_static_selectorELNS0_4arch9wavefront6targetE1EEEvSF_,"axG",@progbits,_ZN7rocprim17ROCPRIM_400000_NS6detail17trampoline_kernelINS0_14default_configENS1_22reduce_config_selectorIiEEZNS1_11reduce_implILb1ES3_PiS7_iN6thrust23THRUST_200600_302600_NS4plusIiEEEE10hipError_tPvRmT1_T2_T3_mT4_P12ihipStream_tbEUlT_E0_NS1_11comp_targetILNS1_3genE2ELNS1_11target_archE906ELNS1_3gpuE6ELNS1_3repE0EEENS1_30default_config_static_selectorELNS0_4arch9wavefront6targetE1EEEvSF_,comdat
	.protected	_ZN7rocprim17ROCPRIM_400000_NS6detail17trampoline_kernelINS0_14default_configENS1_22reduce_config_selectorIiEEZNS1_11reduce_implILb1ES3_PiS7_iN6thrust23THRUST_200600_302600_NS4plusIiEEEE10hipError_tPvRmT1_T2_T3_mT4_P12ihipStream_tbEUlT_E0_NS1_11comp_targetILNS1_3genE2ELNS1_11target_archE906ELNS1_3gpuE6ELNS1_3repE0EEENS1_30default_config_static_selectorELNS0_4arch9wavefront6targetE1EEEvSF_ ; -- Begin function _ZN7rocprim17ROCPRIM_400000_NS6detail17trampoline_kernelINS0_14default_configENS1_22reduce_config_selectorIiEEZNS1_11reduce_implILb1ES3_PiS7_iN6thrust23THRUST_200600_302600_NS4plusIiEEEE10hipError_tPvRmT1_T2_T3_mT4_P12ihipStream_tbEUlT_E0_NS1_11comp_targetILNS1_3genE2ELNS1_11target_archE906ELNS1_3gpuE6ELNS1_3repE0EEENS1_30default_config_static_selectorELNS0_4arch9wavefront6targetE1EEEvSF_
	.globl	_ZN7rocprim17ROCPRIM_400000_NS6detail17trampoline_kernelINS0_14default_configENS1_22reduce_config_selectorIiEEZNS1_11reduce_implILb1ES3_PiS7_iN6thrust23THRUST_200600_302600_NS4plusIiEEEE10hipError_tPvRmT1_T2_T3_mT4_P12ihipStream_tbEUlT_E0_NS1_11comp_targetILNS1_3genE2ELNS1_11target_archE906ELNS1_3gpuE6ELNS1_3repE0EEENS1_30default_config_static_selectorELNS0_4arch9wavefront6targetE1EEEvSF_
	.p2align	8
	.type	_ZN7rocprim17ROCPRIM_400000_NS6detail17trampoline_kernelINS0_14default_configENS1_22reduce_config_selectorIiEEZNS1_11reduce_implILb1ES3_PiS7_iN6thrust23THRUST_200600_302600_NS4plusIiEEEE10hipError_tPvRmT1_T2_T3_mT4_P12ihipStream_tbEUlT_E0_NS1_11comp_targetILNS1_3genE2ELNS1_11target_archE906ELNS1_3gpuE6ELNS1_3repE0EEENS1_30default_config_static_selectorELNS0_4arch9wavefront6targetE1EEEvSF_,@function
_ZN7rocprim17ROCPRIM_400000_NS6detail17trampoline_kernelINS0_14default_configENS1_22reduce_config_selectorIiEEZNS1_11reduce_implILb1ES3_PiS7_iN6thrust23THRUST_200600_302600_NS4plusIiEEEE10hipError_tPvRmT1_T2_T3_mT4_P12ihipStream_tbEUlT_E0_NS1_11comp_targetILNS1_3genE2ELNS1_11target_archE906ELNS1_3gpuE6ELNS1_3repE0EEENS1_30default_config_static_selectorELNS0_4arch9wavefront6targetE1EEEvSF_: ; @_ZN7rocprim17ROCPRIM_400000_NS6detail17trampoline_kernelINS0_14default_configENS1_22reduce_config_selectorIiEEZNS1_11reduce_implILb1ES3_PiS7_iN6thrust23THRUST_200600_302600_NS4plusIiEEEE10hipError_tPvRmT1_T2_T3_mT4_P12ihipStream_tbEUlT_E0_NS1_11comp_targetILNS1_3genE2ELNS1_11target_archE906ELNS1_3gpuE6ELNS1_3repE0EEENS1_30default_config_static_selectorELNS0_4arch9wavefront6targetE1EEEvSF_
; %bb.0:
	.section	.rodata,"a",@progbits
	.p2align	6, 0x0
	.amdhsa_kernel _ZN7rocprim17ROCPRIM_400000_NS6detail17trampoline_kernelINS0_14default_configENS1_22reduce_config_selectorIiEEZNS1_11reduce_implILb1ES3_PiS7_iN6thrust23THRUST_200600_302600_NS4plusIiEEEE10hipError_tPvRmT1_T2_T3_mT4_P12ihipStream_tbEUlT_E0_NS1_11comp_targetILNS1_3genE2ELNS1_11target_archE906ELNS1_3gpuE6ELNS1_3repE0EEENS1_30default_config_static_selectorELNS0_4arch9wavefront6targetE1EEEvSF_
		.amdhsa_group_segment_fixed_size 0
		.amdhsa_private_segment_fixed_size 0
		.amdhsa_kernarg_size 56
		.amdhsa_user_sgpr_count 6
		.amdhsa_user_sgpr_private_segment_buffer 1
		.amdhsa_user_sgpr_dispatch_ptr 0
		.amdhsa_user_sgpr_queue_ptr 0
		.amdhsa_user_sgpr_kernarg_segment_ptr 1
		.amdhsa_user_sgpr_dispatch_id 0
		.amdhsa_user_sgpr_flat_scratch_init 0
		.amdhsa_user_sgpr_kernarg_preload_length 0
		.amdhsa_user_sgpr_kernarg_preload_offset 0
		.amdhsa_user_sgpr_private_segment_size 0
		.amdhsa_uses_dynamic_stack 0
		.amdhsa_system_sgpr_private_segment_wavefront_offset 0
		.amdhsa_system_sgpr_workgroup_id_x 1
		.amdhsa_system_sgpr_workgroup_id_y 0
		.amdhsa_system_sgpr_workgroup_id_z 0
		.amdhsa_system_sgpr_workgroup_info 0
		.amdhsa_system_vgpr_workitem_id 0
		.amdhsa_next_free_vgpr 1
		.amdhsa_next_free_sgpr 0
		.amdhsa_accum_offset 4
		.amdhsa_reserve_vcc 0
		.amdhsa_reserve_flat_scratch 0
		.amdhsa_float_round_mode_32 0
		.amdhsa_float_round_mode_16_64 0
		.amdhsa_float_denorm_mode_32 3
		.amdhsa_float_denorm_mode_16_64 3
		.amdhsa_dx10_clamp 1
		.amdhsa_ieee_mode 1
		.amdhsa_fp16_overflow 0
		.amdhsa_tg_split 0
		.amdhsa_exception_fp_ieee_invalid_op 0
		.amdhsa_exception_fp_denorm_src 0
		.amdhsa_exception_fp_ieee_div_zero 0
		.amdhsa_exception_fp_ieee_overflow 0
		.amdhsa_exception_fp_ieee_underflow 0
		.amdhsa_exception_fp_ieee_inexact 0
		.amdhsa_exception_int_div_zero 0
	.end_amdhsa_kernel
	.section	.text._ZN7rocprim17ROCPRIM_400000_NS6detail17trampoline_kernelINS0_14default_configENS1_22reduce_config_selectorIiEEZNS1_11reduce_implILb1ES3_PiS7_iN6thrust23THRUST_200600_302600_NS4plusIiEEEE10hipError_tPvRmT1_T2_T3_mT4_P12ihipStream_tbEUlT_E0_NS1_11comp_targetILNS1_3genE2ELNS1_11target_archE906ELNS1_3gpuE6ELNS1_3repE0EEENS1_30default_config_static_selectorELNS0_4arch9wavefront6targetE1EEEvSF_,"axG",@progbits,_ZN7rocprim17ROCPRIM_400000_NS6detail17trampoline_kernelINS0_14default_configENS1_22reduce_config_selectorIiEEZNS1_11reduce_implILb1ES3_PiS7_iN6thrust23THRUST_200600_302600_NS4plusIiEEEE10hipError_tPvRmT1_T2_T3_mT4_P12ihipStream_tbEUlT_E0_NS1_11comp_targetILNS1_3genE2ELNS1_11target_archE906ELNS1_3gpuE6ELNS1_3repE0EEENS1_30default_config_static_selectorELNS0_4arch9wavefront6targetE1EEEvSF_,comdat
.Lfunc_end4:
	.size	_ZN7rocprim17ROCPRIM_400000_NS6detail17trampoline_kernelINS0_14default_configENS1_22reduce_config_selectorIiEEZNS1_11reduce_implILb1ES3_PiS7_iN6thrust23THRUST_200600_302600_NS4plusIiEEEE10hipError_tPvRmT1_T2_T3_mT4_P12ihipStream_tbEUlT_E0_NS1_11comp_targetILNS1_3genE2ELNS1_11target_archE906ELNS1_3gpuE6ELNS1_3repE0EEENS1_30default_config_static_selectorELNS0_4arch9wavefront6targetE1EEEvSF_, .Lfunc_end4-_ZN7rocprim17ROCPRIM_400000_NS6detail17trampoline_kernelINS0_14default_configENS1_22reduce_config_selectorIiEEZNS1_11reduce_implILb1ES3_PiS7_iN6thrust23THRUST_200600_302600_NS4plusIiEEEE10hipError_tPvRmT1_T2_T3_mT4_P12ihipStream_tbEUlT_E0_NS1_11comp_targetILNS1_3genE2ELNS1_11target_archE906ELNS1_3gpuE6ELNS1_3repE0EEENS1_30default_config_static_selectorELNS0_4arch9wavefront6targetE1EEEvSF_
                                        ; -- End function
	.section	.AMDGPU.csdata,"",@progbits
; Kernel info:
; codeLenInByte = 0
; NumSgprs: 4
; NumVgprs: 0
; NumAgprs: 0
; TotalNumVgprs: 0
; ScratchSize: 0
; MemoryBound: 0
; FloatMode: 240
; IeeeMode: 1
; LDSByteSize: 0 bytes/workgroup (compile time only)
; SGPRBlocks: 0
; VGPRBlocks: 0
; NumSGPRsForWavesPerEU: 4
; NumVGPRsForWavesPerEU: 1
; AccumOffset: 4
; Occupancy: 8
; WaveLimiterHint : 0
; COMPUTE_PGM_RSRC2:SCRATCH_EN: 0
; COMPUTE_PGM_RSRC2:USER_SGPR: 6
; COMPUTE_PGM_RSRC2:TRAP_HANDLER: 0
; COMPUTE_PGM_RSRC2:TGID_X_EN: 1
; COMPUTE_PGM_RSRC2:TGID_Y_EN: 0
; COMPUTE_PGM_RSRC2:TGID_Z_EN: 0
; COMPUTE_PGM_RSRC2:TIDIG_COMP_CNT: 0
; COMPUTE_PGM_RSRC3_GFX90A:ACCUM_OFFSET: 0
; COMPUTE_PGM_RSRC3_GFX90A:TG_SPLIT: 0
	.section	.text._ZN7rocprim17ROCPRIM_400000_NS6detail17trampoline_kernelINS0_14default_configENS1_22reduce_config_selectorIiEEZNS1_11reduce_implILb1ES3_PiS7_iN6thrust23THRUST_200600_302600_NS4plusIiEEEE10hipError_tPvRmT1_T2_T3_mT4_P12ihipStream_tbEUlT_E0_NS1_11comp_targetILNS1_3genE10ELNS1_11target_archE1201ELNS1_3gpuE5ELNS1_3repE0EEENS1_30default_config_static_selectorELNS0_4arch9wavefront6targetE1EEEvSF_,"axG",@progbits,_ZN7rocprim17ROCPRIM_400000_NS6detail17trampoline_kernelINS0_14default_configENS1_22reduce_config_selectorIiEEZNS1_11reduce_implILb1ES3_PiS7_iN6thrust23THRUST_200600_302600_NS4plusIiEEEE10hipError_tPvRmT1_T2_T3_mT4_P12ihipStream_tbEUlT_E0_NS1_11comp_targetILNS1_3genE10ELNS1_11target_archE1201ELNS1_3gpuE5ELNS1_3repE0EEENS1_30default_config_static_selectorELNS0_4arch9wavefront6targetE1EEEvSF_,comdat
	.protected	_ZN7rocprim17ROCPRIM_400000_NS6detail17trampoline_kernelINS0_14default_configENS1_22reduce_config_selectorIiEEZNS1_11reduce_implILb1ES3_PiS7_iN6thrust23THRUST_200600_302600_NS4plusIiEEEE10hipError_tPvRmT1_T2_T3_mT4_P12ihipStream_tbEUlT_E0_NS1_11comp_targetILNS1_3genE10ELNS1_11target_archE1201ELNS1_3gpuE5ELNS1_3repE0EEENS1_30default_config_static_selectorELNS0_4arch9wavefront6targetE1EEEvSF_ ; -- Begin function _ZN7rocprim17ROCPRIM_400000_NS6detail17trampoline_kernelINS0_14default_configENS1_22reduce_config_selectorIiEEZNS1_11reduce_implILb1ES3_PiS7_iN6thrust23THRUST_200600_302600_NS4plusIiEEEE10hipError_tPvRmT1_T2_T3_mT4_P12ihipStream_tbEUlT_E0_NS1_11comp_targetILNS1_3genE10ELNS1_11target_archE1201ELNS1_3gpuE5ELNS1_3repE0EEENS1_30default_config_static_selectorELNS0_4arch9wavefront6targetE1EEEvSF_
	.globl	_ZN7rocprim17ROCPRIM_400000_NS6detail17trampoline_kernelINS0_14default_configENS1_22reduce_config_selectorIiEEZNS1_11reduce_implILb1ES3_PiS7_iN6thrust23THRUST_200600_302600_NS4plusIiEEEE10hipError_tPvRmT1_T2_T3_mT4_P12ihipStream_tbEUlT_E0_NS1_11comp_targetILNS1_3genE10ELNS1_11target_archE1201ELNS1_3gpuE5ELNS1_3repE0EEENS1_30default_config_static_selectorELNS0_4arch9wavefront6targetE1EEEvSF_
	.p2align	8
	.type	_ZN7rocprim17ROCPRIM_400000_NS6detail17trampoline_kernelINS0_14default_configENS1_22reduce_config_selectorIiEEZNS1_11reduce_implILb1ES3_PiS7_iN6thrust23THRUST_200600_302600_NS4plusIiEEEE10hipError_tPvRmT1_T2_T3_mT4_P12ihipStream_tbEUlT_E0_NS1_11comp_targetILNS1_3genE10ELNS1_11target_archE1201ELNS1_3gpuE5ELNS1_3repE0EEENS1_30default_config_static_selectorELNS0_4arch9wavefront6targetE1EEEvSF_,@function
_ZN7rocprim17ROCPRIM_400000_NS6detail17trampoline_kernelINS0_14default_configENS1_22reduce_config_selectorIiEEZNS1_11reduce_implILb1ES3_PiS7_iN6thrust23THRUST_200600_302600_NS4plusIiEEEE10hipError_tPvRmT1_T2_T3_mT4_P12ihipStream_tbEUlT_E0_NS1_11comp_targetILNS1_3genE10ELNS1_11target_archE1201ELNS1_3gpuE5ELNS1_3repE0EEENS1_30default_config_static_selectorELNS0_4arch9wavefront6targetE1EEEvSF_: ; @_ZN7rocprim17ROCPRIM_400000_NS6detail17trampoline_kernelINS0_14default_configENS1_22reduce_config_selectorIiEEZNS1_11reduce_implILb1ES3_PiS7_iN6thrust23THRUST_200600_302600_NS4plusIiEEEE10hipError_tPvRmT1_T2_T3_mT4_P12ihipStream_tbEUlT_E0_NS1_11comp_targetILNS1_3genE10ELNS1_11target_archE1201ELNS1_3gpuE5ELNS1_3repE0EEENS1_30default_config_static_selectorELNS0_4arch9wavefront6targetE1EEEvSF_
; %bb.0:
	.section	.rodata,"a",@progbits
	.p2align	6, 0x0
	.amdhsa_kernel _ZN7rocprim17ROCPRIM_400000_NS6detail17trampoline_kernelINS0_14default_configENS1_22reduce_config_selectorIiEEZNS1_11reduce_implILb1ES3_PiS7_iN6thrust23THRUST_200600_302600_NS4plusIiEEEE10hipError_tPvRmT1_T2_T3_mT4_P12ihipStream_tbEUlT_E0_NS1_11comp_targetILNS1_3genE10ELNS1_11target_archE1201ELNS1_3gpuE5ELNS1_3repE0EEENS1_30default_config_static_selectorELNS0_4arch9wavefront6targetE1EEEvSF_
		.amdhsa_group_segment_fixed_size 0
		.amdhsa_private_segment_fixed_size 0
		.amdhsa_kernarg_size 56
		.amdhsa_user_sgpr_count 6
		.amdhsa_user_sgpr_private_segment_buffer 1
		.amdhsa_user_sgpr_dispatch_ptr 0
		.amdhsa_user_sgpr_queue_ptr 0
		.amdhsa_user_sgpr_kernarg_segment_ptr 1
		.amdhsa_user_sgpr_dispatch_id 0
		.amdhsa_user_sgpr_flat_scratch_init 0
		.amdhsa_user_sgpr_kernarg_preload_length 0
		.amdhsa_user_sgpr_kernarg_preload_offset 0
		.amdhsa_user_sgpr_private_segment_size 0
		.amdhsa_uses_dynamic_stack 0
		.amdhsa_system_sgpr_private_segment_wavefront_offset 0
		.amdhsa_system_sgpr_workgroup_id_x 1
		.amdhsa_system_sgpr_workgroup_id_y 0
		.amdhsa_system_sgpr_workgroup_id_z 0
		.amdhsa_system_sgpr_workgroup_info 0
		.amdhsa_system_vgpr_workitem_id 0
		.amdhsa_next_free_vgpr 1
		.amdhsa_next_free_sgpr 0
		.amdhsa_accum_offset 4
		.amdhsa_reserve_vcc 0
		.amdhsa_reserve_flat_scratch 0
		.amdhsa_float_round_mode_32 0
		.amdhsa_float_round_mode_16_64 0
		.amdhsa_float_denorm_mode_32 3
		.amdhsa_float_denorm_mode_16_64 3
		.amdhsa_dx10_clamp 1
		.amdhsa_ieee_mode 1
		.amdhsa_fp16_overflow 0
		.amdhsa_tg_split 0
		.amdhsa_exception_fp_ieee_invalid_op 0
		.amdhsa_exception_fp_denorm_src 0
		.amdhsa_exception_fp_ieee_div_zero 0
		.amdhsa_exception_fp_ieee_overflow 0
		.amdhsa_exception_fp_ieee_underflow 0
		.amdhsa_exception_fp_ieee_inexact 0
		.amdhsa_exception_int_div_zero 0
	.end_amdhsa_kernel
	.section	.text._ZN7rocprim17ROCPRIM_400000_NS6detail17trampoline_kernelINS0_14default_configENS1_22reduce_config_selectorIiEEZNS1_11reduce_implILb1ES3_PiS7_iN6thrust23THRUST_200600_302600_NS4plusIiEEEE10hipError_tPvRmT1_T2_T3_mT4_P12ihipStream_tbEUlT_E0_NS1_11comp_targetILNS1_3genE10ELNS1_11target_archE1201ELNS1_3gpuE5ELNS1_3repE0EEENS1_30default_config_static_selectorELNS0_4arch9wavefront6targetE1EEEvSF_,"axG",@progbits,_ZN7rocprim17ROCPRIM_400000_NS6detail17trampoline_kernelINS0_14default_configENS1_22reduce_config_selectorIiEEZNS1_11reduce_implILb1ES3_PiS7_iN6thrust23THRUST_200600_302600_NS4plusIiEEEE10hipError_tPvRmT1_T2_T3_mT4_P12ihipStream_tbEUlT_E0_NS1_11comp_targetILNS1_3genE10ELNS1_11target_archE1201ELNS1_3gpuE5ELNS1_3repE0EEENS1_30default_config_static_selectorELNS0_4arch9wavefront6targetE1EEEvSF_,comdat
.Lfunc_end5:
	.size	_ZN7rocprim17ROCPRIM_400000_NS6detail17trampoline_kernelINS0_14default_configENS1_22reduce_config_selectorIiEEZNS1_11reduce_implILb1ES3_PiS7_iN6thrust23THRUST_200600_302600_NS4plusIiEEEE10hipError_tPvRmT1_T2_T3_mT4_P12ihipStream_tbEUlT_E0_NS1_11comp_targetILNS1_3genE10ELNS1_11target_archE1201ELNS1_3gpuE5ELNS1_3repE0EEENS1_30default_config_static_selectorELNS0_4arch9wavefront6targetE1EEEvSF_, .Lfunc_end5-_ZN7rocprim17ROCPRIM_400000_NS6detail17trampoline_kernelINS0_14default_configENS1_22reduce_config_selectorIiEEZNS1_11reduce_implILb1ES3_PiS7_iN6thrust23THRUST_200600_302600_NS4plusIiEEEE10hipError_tPvRmT1_T2_T3_mT4_P12ihipStream_tbEUlT_E0_NS1_11comp_targetILNS1_3genE10ELNS1_11target_archE1201ELNS1_3gpuE5ELNS1_3repE0EEENS1_30default_config_static_selectorELNS0_4arch9wavefront6targetE1EEEvSF_
                                        ; -- End function
	.section	.AMDGPU.csdata,"",@progbits
; Kernel info:
; codeLenInByte = 0
; NumSgprs: 4
; NumVgprs: 0
; NumAgprs: 0
; TotalNumVgprs: 0
; ScratchSize: 0
; MemoryBound: 0
; FloatMode: 240
; IeeeMode: 1
; LDSByteSize: 0 bytes/workgroup (compile time only)
; SGPRBlocks: 0
; VGPRBlocks: 0
; NumSGPRsForWavesPerEU: 4
; NumVGPRsForWavesPerEU: 1
; AccumOffset: 4
; Occupancy: 8
; WaveLimiterHint : 0
; COMPUTE_PGM_RSRC2:SCRATCH_EN: 0
; COMPUTE_PGM_RSRC2:USER_SGPR: 6
; COMPUTE_PGM_RSRC2:TRAP_HANDLER: 0
; COMPUTE_PGM_RSRC2:TGID_X_EN: 1
; COMPUTE_PGM_RSRC2:TGID_Y_EN: 0
; COMPUTE_PGM_RSRC2:TGID_Z_EN: 0
; COMPUTE_PGM_RSRC2:TIDIG_COMP_CNT: 0
; COMPUTE_PGM_RSRC3_GFX90A:ACCUM_OFFSET: 0
; COMPUTE_PGM_RSRC3_GFX90A:TG_SPLIT: 0
	.section	.text._ZN7rocprim17ROCPRIM_400000_NS6detail17trampoline_kernelINS0_14default_configENS1_22reduce_config_selectorIiEEZNS1_11reduce_implILb1ES3_PiS7_iN6thrust23THRUST_200600_302600_NS4plusIiEEEE10hipError_tPvRmT1_T2_T3_mT4_P12ihipStream_tbEUlT_E0_NS1_11comp_targetILNS1_3genE10ELNS1_11target_archE1200ELNS1_3gpuE4ELNS1_3repE0EEENS1_30default_config_static_selectorELNS0_4arch9wavefront6targetE1EEEvSF_,"axG",@progbits,_ZN7rocprim17ROCPRIM_400000_NS6detail17trampoline_kernelINS0_14default_configENS1_22reduce_config_selectorIiEEZNS1_11reduce_implILb1ES3_PiS7_iN6thrust23THRUST_200600_302600_NS4plusIiEEEE10hipError_tPvRmT1_T2_T3_mT4_P12ihipStream_tbEUlT_E0_NS1_11comp_targetILNS1_3genE10ELNS1_11target_archE1200ELNS1_3gpuE4ELNS1_3repE0EEENS1_30default_config_static_selectorELNS0_4arch9wavefront6targetE1EEEvSF_,comdat
	.protected	_ZN7rocprim17ROCPRIM_400000_NS6detail17trampoline_kernelINS0_14default_configENS1_22reduce_config_selectorIiEEZNS1_11reduce_implILb1ES3_PiS7_iN6thrust23THRUST_200600_302600_NS4plusIiEEEE10hipError_tPvRmT1_T2_T3_mT4_P12ihipStream_tbEUlT_E0_NS1_11comp_targetILNS1_3genE10ELNS1_11target_archE1200ELNS1_3gpuE4ELNS1_3repE0EEENS1_30default_config_static_selectorELNS0_4arch9wavefront6targetE1EEEvSF_ ; -- Begin function _ZN7rocprim17ROCPRIM_400000_NS6detail17trampoline_kernelINS0_14default_configENS1_22reduce_config_selectorIiEEZNS1_11reduce_implILb1ES3_PiS7_iN6thrust23THRUST_200600_302600_NS4plusIiEEEE10hipError_tPvRmT1_T2_T3_mT4_P12ihipStream_tbEUlT_E0_NS1_11comp_targetILNS1_3genE10ELNS1_11target_archE1200ELNS1_3gpuE4ELNS1_3repE0EEENS1_30default_config_static_selectorELNS0_4arch9wavefront6targetE1EEEvSF_
	.globl	_ZN7rocprim17ROCPRIM_400000_NS6detail17trampoline_kernelINS0_14default_configENS1_22reduce_config_selectorIiEEZNS1_11reduce_implILb1ES3_PiS7_iN6thrust23THRUST_200600_302600_NS4plusIiEEEE10hipError_tPvRmT1_T2_T3_mT4_P12ihipStream_tbEUlT_E0_NS1_11comp_targetILNS1_3genE10ELNS1_11target_archE1200ELNS1_3gpuE4ELNS1_3repE0EEENS1_30default_config_static_selectorELNS0_4arch9wavefront6targetE1EEEvSF_
	.p2align	8
	.type	_ZN7rocprim17ROCPRIM_400000_NS6detail17trampoline_kernelINS0_14default_configENS1_22reduce_config_selectorIiEEZNS1_11reduce_implILb1ES3_PiS7_iN6thrust23THRUST_200600_302600_NS4plusIiEEEE10hipError_tPvRmT1_T2_T3_mT4_P12ihipStream_tbEUlT_E0_NS1_11comp_targetILNS1_3genE10ELNS1_11target_archE1200ELNS1_3gpuE4ELNS1_3repE0EEENS1_30default_config_static_selectorELNS0_4arch9wavefront6targetE1EEEvSF_,@function
_ZN7rocprim17ROCPRIM_400000_NS6detail17trampoline_kernelINS0_14default_configENS1_22reduce_config_selectorIiEEZNS1_11reduce_implILb1ES3_PiS7_iN6thrust23THRUST_200600_302600_NS4plusIiEEEE10hipError_tPvRmT1_T2_T3_mT4_P12ihipStream_tbEUlT_E0_NS1_11comp_targetILNS1_3genE10ELNS1_11target_archE1200ELNS1_3gpuE4ELNS1_3repE0EEENS1_30default_config_static_selectorELNS0_4arch9wavefront6targetE1EEEvSF_: ; @_ZN7rocprim17ROCPRIM_400000_NS6detail17trampoline_kernelINS0_14default_configENS1_22reduce_config_selectorIiEEZNS1_11reduce_implILb1ES3_PiS7_iN6thrust23THRUST_200600_302600_NS4plusIiEEEE10hipError_tPvRmT1_T2_T3_mT4_P12ihipStream_tbEUlT_E0_NS1_11comp_targetILNS1_3genE10ELNS1_11target_archE1200ELNS1_3gpuE4ELNS1_3repE0EEENS1_30default_config_static_selectorELNS0_4arch9wavefront6targetE1EEEvSF_
; %bb.0:
	.section	.rodata,"a",@progbits
	.p2align	6, 0x0
	.amdhsa_kernel _ZN7rocprim17ROCPRIM_400000_NS6detail17trampoline_kernelINS0_14default_configENS1_22reduce_config_selectorIiEEZNS1_11reduce_implILb1ES3_PiS7_iN6thrust23THRUST_200600_302600_NS4plusIiEEEE10hipError_tPvRmT1_T2_T3_mT4_P12ihipStream_tbEUlT_E0_NS1_11comp_targetILNS1_3genE10ELNS1_11target_archE1200ELNS1_3gpuE4ELNS1_3repE0EEENS1_30default_config_static_selectorELNS0_4arch9wavefront6targetE1EEEvSF_
		.amdhsa_group_segment_fixed_size 0
		.amdhsa_private_segment_fixed_size 0
		.amdhsa_kernarg_size 56
		.amdhsa_user_sgpr_count 6
		.amdhsa_user_sgpr_private_segment_buffer 1
		.amdhsa_user_sgpr_dispatch_ptr 0
		.amdhsa_user_sgpr_queue_ptr 0
		.amdhsa_user_sgpr_kernarg_segment_ptr 1
		.amdhsa_user_sgpr_dispatch_id 0
		.amdhsa_user_sgpr_flat_scratch_init 0
		.amdhsa_user_sgpr_kernarg_preload_length 0
		.amdhsa_user_sgpr_kernarg_preload_offset 0
		.amdhsa_user_sgpr_private_segment_size 0
		.amdhsa_uses_dynamic_stack 0
		.amdhsa_system_sgpr_private_segment_wavefront_offset 0
		.amdhsa_system_sgpr_workgroup_id_x 1
		.amdhsa_system_sgpr_workgroup_id_y 0
		.amdhsa_system_sgpr_workgroup_id_z 0
		.amdhsa_system_sgpr_workgroup_info 0
		.amdhsa_system_vgpr_workitem_id 0
		.amdhsa_next_free_vgpr 1
		.amdhsa_next_free_sgpr 0
		.amdhsa_accum_offset 4
		.amdhsa_reserve_vcc 0
		.amdhsa_reserve_flat_scratch 0
		.amdhsa_float_round_mode_32 0
		.amdhsa_float_round_mode_16_64 0
		.amdhsa_float_denorm_mode_32 3
		.amdhsa_float_denorm_mode_16_64 3
		.amdhsa_dx10_clamp 1
		.amdhsa_ieee_mode 1
		.amdhsa_fp16_overflow 0
		.amdhsa_tg_split 0
		.amdhsa_exception_fp_ieee_invalid_op 0
		.amdhsa_exception_fp_denorm_src 0
		.amdhsa_exception_fp_ieee_div_zero 0
		.amdhsa_exception_fp_ieee_overflow 0
		.amdhsa_exception_fp_ieee_underflow 0
		.amdhsa_exception_fp_ieee_inexact 0
		.amdhsa_exception_int_div_zero 0
	.end_amdhsa_kernel
	.section	.text._ZN7rocprim17ROCPRIM_400000_NS6detail17trampoline_kernelINS0_14default_configENS1_22reduce_config_selectorIiEEZNS1_11reduce_implILb1ES3_PiS7_iN6thrust23THRUST_200600_302600_NS4plusIiEEEE10hipError_tPvRmT1_T2_T3_mT4_P12ihipStream_tbEUlT_E0_NS1_11comp_targetILNS1_3genE10ELNS1_11target_archE1200ELNS1_3gpuE4ELNS1_3repE0EEENS1_30default_config_static_selectorELNS0_4arch9wavefront6targetE1EEEvSF_,"axG",@progbits,_ZN7rocprim17ROCPRIM_400000_NS6detail17trampoline_kernelINS0_14default_configENS1_22reduce_config_selectorIiEEZNS1_11reduce_implILb1ES3_PiS7_iN6thrust23THRUST_200600_302600_NS4plusIiEEEE10hipError_tPvRmT1_T2_T3_mT4_P12ihipStream_tbEUlT_E0_NS1_11comp_targetILNS1_3genE10ELNS1_11target_archE1200ELNS1_3gpuE4ELNS1_3repE0EEENS1_30default_config_static_selectorELNS0_4arch9wavefront6targetE1EEEvSF_,comdat
.Lfunc_end6:
	.size	_ZN7rocprim17ROCPRIM_400000_NS6detail17trampoline_kernelINS0_14default_configENS1_22reduce_config_selectorIiEEZNS1_11reduce_implILb1ES3_PiS7_iN6thrust23THRUST_200600_302600_NS4plusIiEEEE10hipError_tPvRmT1_T2_T3_mT4_P12ihipStream_tbEUlT_E0_NS1_11comp_targetILNS1_3genE10ELNS1_11target_archE1200ELNS1_3gpuE4ELNS1_3repE0EEENS1_30default_config_static_selectorELNS0_4arch9wavefront6targetE1EEEvSF_, .Lfunc_end6-_ZN7rocprim17ROCPRIM_400000_NS6detail17trampoline_kernelINS0_14default_configENS1_22reduce_config_selectorIiEEZNS1_11reduce_implILb1ES3_PiS7_iN6thrust23THRUST_200600_302600_NS4plusIiEEEE10hipError_tPvRmT1_T2_T3_mT4_P12ihipStream_tbEUlT_E0_NS1_11comp_targetILNS1_3genE10ELNS1_11target_archE1200ELNS1_3gpuE4ELNS1_3repE0EEENS1_30default_config_static_selectorELNS0_4arch9wavefront6targetE1EEEvSF_
                                        ; -- End function
	.section	.AMDGPU.csdata,"",@progbits
; Kernel info:
; codeLenInByte = 0
; NumSgprs: 4
; NumVgprs: 0
; NumAgprs: 0
; TotalNumVgprs: 0
; ScratchSize: 0
; MemoryBound: 0
; FloatMode: 240
; IeeeMode: 1
; LDSByteSize: 0 bytes/workgroup (compile time only)
; SGPRBlocks: 0
; VGPRBlocks: 0
; NumSGPRsForWavesPerEU: 4
; NumVGPRsForWavesPerEU: 1
; AccumOffset: 4
; Occupancy: 8
; WaveLimiterHint : 0
; COMPUTE_PGM_RSRC2:SCRATCH_EN: 0
; COMPUTE_PGM_RSRC2:USER_SGPR: 6
; COMPUTE_PGM_RSRC2:TRAP_HANDLER: 0
; COMPUTE_PGM_RSRC2:TGID_X_EN: 1
; COMPUTE_PGM_RSRC2:TGID_Y_EN: 0
; COMPUTE_PGM_RSRC2:TGID_Z_EN: 0
; COMPUTE_PGM_RSRC2:TIDIG_COMP_CNT: 0
; COMPUTE_PGM_RSRC3_GFX90A:ACCUM_OFFSET: 0
; COMPUTE_PGM_RSRC3_GFX90A:TG_SPLIT: 0
	.section	.text._ZN7rocprim17ROCPRIM_400000_NS6detail17trampoline_kernelINS0_14default_configENS1_22reduce_config_selectorIiEEZNS1_11reduce_implILb1ES3_PiS7_iN6thrust23THRUST_200600_302600_NS4plusIiEEEE10hipError_tPvRmT1_T2_T3_mT4_P12ihipStream_tbEUlT_E0_NS1_11comp_targetILNS1_3genE9ELNS1_11target_archE1100ELNS1_3gpuE3ELNS1_3repE0EEENS1_30default_config_static_selectorELNS0_4arch9wavefront6targetE1EEEvSF_,"axG",@progbits,_ZN7rocprim17ROCPRIM_400000_NS6detail17trampoline_kernelINS0_14default_configENS1_22reduce_config_selectorIiEEZNS1_11reduce_implILb1ES3_PiS7_iN6thrust23THRUST_200600_302600_NS4plusIiEEEE10hipError_tPvRmT1_T2_T3_mT4_P12ihipStream_tbEUlT_E0_NS1_11comp_targetILNS1_3genE9ELNS1_11target_archE1100ELNS1_3gpuE3ELNS1_3repE0EEENS1_30default_config_static_selectorELNS0_4arch9wavefront6targetE1EEEvSF_,comdat
	.protected	_ZN7rocprim17ROCPRIM_400000_NS6detail17trampoline_kernelINS0_14default_configENS1_22reduce_config_selectorIiEEZNS1_11reduce_implILb1ES3_PiS7_iN6thrust23THRUST_200600_302600_NS4plusIiEEEE10hipError_tPvRmT1_T2_T3_mT4_P12ihipStream_tbEUlT_E0_NS1_11comp_targetILNS1_3genE9ELNS1_11target_archE1100ELNS1_3gpuE3ELNS1_3repE0EEENS1_30default_config_static_selectorELNS0_4arch9wavefront6targetE1EEEvSF_ ; -- Begin function _ZN7rocprim17ROCPRIM_400000_NS6detail17trampoline_kernelINS0_14default_configENS1_22reduce_config_selectorIiEEZNS1_11reduce_implILb1ES3_PiS7_iN6thrust23THRUST_200600_302600_NS4plusIiEEEE10hipError_tPvRmT1_T2_T3_mT4_P12ihipStream_tbEUlT_E0_NS1_11comp_targetILNS1_3genE9ELNS1_11target_archE1100ELNS1_3gpuE3ELNS1_3repE0EEENS1_30default_config_static_selectorELNS0_4arch9wavefront6targetE1EEEvSF_
	.globl	_ZN7rocprim17ROCPRIM_400000_NS6detail17trampoline_kernelINS0_14default_configENS1_22reduce_config_selectorIiEEZNS1_11reduce_implILb1ES3_PiS7_iN6thrust23THRUST_200600_302600_NS4plusIiEEEE10hipError_tPvRmT1_T2_T3_mT4_P12ihipStream_tbEUlT_E0_NS1_11comp_targetILNS1_3genE9ELNS1_11target_archE1100ELNS1_3gpuE3ELNS1_3repE0EEENS1_30default_config_static_selectorELNS0_4arch9wavefront6targetE1EEEvSF_
	.p2align	8
	.type	_ZN7rocprim17ROCPRIM_400000_NS6detail17trampoline_kernelINS0_14default_configENS1_22reduce_config_selectorIiEEZNS1_11reduce_implILb1ES3_PiS7_iN6thrust23THRUST_200600_302600_NS4plusIiEEEE10hipError_tPvRmT1_T2_T3_mT4_P12ihipStream_tbEUlT_E0_NS1_11comp_targetILNS1_3genE9ELNS1_11target_archE1100ELNS1_3gpuE3ELNS1_3repE0EEENS1_30default_config_static_selectorELNS0_4arch9wavefront6targetE1EEEvSF_,@function
_ZN7rocprim17ROCPRIM_400000_NS6detail17trampoline_kernelINS0_14default_configENS1_22reduce_config_selectorIiEEZNS1_11reduce_implILb1ES3_PiS7_iN6thrust23THRUST_200600_302600_NS4plusIiEEEE10hipError_tPvRmT1_T2_T3_mT4_P12ihipStream_tbEUlT_E0_NS1_11comp_targetILNS1_3genE9ELNS1_11target_archE1100ELNS1_3gpuE3ELNS1_3repE0EEENS1_30default_config_static_selectorELNS0_4arch9wavefront6targetE1EEEvSF_: ; @_ZN7rocprim17ROCPRIM_400000_NS6detail17trampoline_kernelINS0_14default_configENS1_22reduce_config_selectorIiEEZNS1_11reduce_implILb1ES3_PiS7_iN6thrust23THRUST_200600_302600_NS4plusIiEEEE10hipError_tPvRmT1_T2_T3_mT4_P12ihipStream_tbEUlT_E0_NS1_11comp_targetILNS1_3genE9ELNS1_11target_archE1100ELNS1_3gpuE3ELNS1_3repE0EEENS1_30default_config_static_selectorELNS0_4arch9wavefront6targetE1EEEvSF_
; %bb.0:
	.section	.rodata,"a",@progbits
	.p2align	6, 0x0
	.amdhsa_kernel _ZN7rocprim17ROCPRIM_400000_NS6detail17trampoline_kernelINS0_14default_configENS1_22reduce_config_selectorIiEEZNS1_11reduce_implILb1ES3_PiS7_iN6thrust23THRUST_200600_302600_NS4plusIiEEEE10hipError_tPvRmT1_T2_T3_mT4_P12ihipStream_tbEUlT_E0_NS1_11comp_targetILNS1_3genE9ELNS1_11target_archE1100ELNS1_3gpuE3ELNS1_3repE0EEENS1_30default_config_static_selectorELNS0_4arch9wavefront6targetE1EEEvSF_
		.amdhsa_group_segment_fixed_size 0
		.amdhsa_private_segment_fixed_size 0
		.amdhsa_kernarg_size 56
		.amdhsa_user_sgpr_count 6
		.amdhsa_user_sgpr_private_segment_buffer 1
		.amdhsa_user_sgpr_dispatch_ptr 0
		.amdhsa_user_sgpr_queue_ptr 0
		.amdhsa_user_sgpr_kernarg_segment_ptr 1
		.amdhsa_user_sgpr_dispatch_id 0
		.amdhsa_user_sgpr_flat_scratch_init 0
		.amdhsa_user_sgpr_kernarg_preload_length 0
		.amdhsa_user_sgpr_kernarg_preload_offset 0
		.amdhsa_user_sgpr_private_segment_size 0
		.amdhsa_uses_dynamic_stack 0
		.amdhsa_system_sgpr_private_segment_wavefront_offset 0
		.amdhsa_system_sgpr_workgroup_id_x 1
		.amdhsa_system_sgpr_workgroup_id_y 0
		.amdhsa_system_sgpr_workgroup_id_z 0
		.amdhsa_system_sgpr_workgroup_info 0
		.amdhsa_system_vgpr_workitem_id 0
		.amdhsa_next_free_vgpr 1
		.amdhsa_next_free_sgpr 0
		.amdhsa_accum_offset 4
		.amdhsa_reserve_vcc 0
		.amdhsa_reserve_flat_scratch 0
		.amdhsa_float_round_mode_32 0
		.amdhsa_float_round_mode_16_64 0
		.amdhsa_float_denorm_mode_32 3
		.amdhsa_float_denorm_mode_16_64 3
		.amdhsa_dx10_clamp 1
		.amdhsa_ieee_mode 1
		.amdhsa_fp16_overflow 0
		.amdhsa_tg_split 0
		.amdhsa_exception_fp_ieee_invalid_op 0
		.amdhsa_exception_fp_denorm_src 0
		.amdhsa_exception_fp_ieee_div_zero 0
		.amdhsa_exception_fp_ieee_overflow 0
		.amdhsa_exception_fp_ieee_underflow 0
		.amdhsa_exception_fp_ieee_inexact 0
		.amdhsa_exception_int_div_zero 0
	.end_amdhsa_kernel
	.section	.text._ZN7rocprim17ROCPRIM_400000_NS6detail17trampoline_kernelINS0_14default_configENS1_22reduce_config_selectorIiEEZNS1_11reduce_implILb1ES3_PiS7_iN6thrust23THRUST_200600_302600_NS4plusIiEEEE10hipError_tPvRmT1_T2_T3_mT4_P12ihipStream_tbEUlT_E0_NS1_11comp_targetILNS1_3genE9ELNS1_11target_archE1100ELNS1_3gpuE3ELNS1_3repE0EEENS1_30default_config_static_selectorELNS0_4arch9wavefront6targetE1EEEvSF_,"axG",@progbits,_ZN7rocprim17ROCPRIM_400000_NS6detail17trampoline_kernelINS0_14default_configENS1_22reduce_config_selectorIiEEZNS1_11reduce_implILb1ES3_PiS7_iN6thrust23THRUST_200600_302600_NS4plusIiEEEE10hipError_tPvRmT1_T2_T3_mT4_P12ihipStream_tbEUlT_E0_NS1_11comp_targetILNS1_3genE9ELNS1_11target_archE1100ELNS1_3gpuE3ELNS1_3repE0EEENS1_30default_config_static_selectorELNS0_4arch9wavefront6targetE1EEEvSF_,comdat
.Lfunc_end7:
	.size	_ZN7rocprim17ROCPRIM_400000_NS6detail17trampoline_kernelINS0_14default_configENS1_22reduce_config_selectorIiEEZNS1_11reduce_implILb1ES3_PiS7_iN6thrust23THRUST_200600_302600_NS4plusIiEEEE10hipError_tPvRmT1_T2_T3_mT4_P12ihipStream_tbEUlT_E0_NS1_11comp_targetILNS1_3genE9ELNS1_11target_archE1100ELNS1_3gpuE3ELNS1_3repE0EEENS1_30default_config_static_selectorELNS0_4arch9wavefront6targetE1EEEvSF_, .Lfunc_end7-_ZN7rocprim17ROCPRIM_400000_NS6detail17trampoline_kernelINS0_14default_configENS1_22reduce_config_selectorIiEEZNS1_11reduce_implILb1ES3_PiS7_iN6thrust23THRUST_200600_302600_NS4plusIiEEEE10hipError_tPvRmT1_T2_T3_mT4_P12ihipStream_tbEUlT_E0_NS1_11comp_targetILNS1_3genE9ELNS1_11target_archE1100ELNS1_3gpuE3ELNS1_3repE0EEENS1_30default_config_static_selectorELNS0_4arch9wavefront6targetE1EEEvSF_
                                        ; -- End function
	.section	.AMDGPU.csdata,"",@progbits
; Kernel info:
; codeLenInByte = 0
; NumSgprs: 4
; NumVgprs: 0
; NumAgprs: 0
; TotalNumVgprs: 0
; ScratchSize: 0
; MemoryBound: 0
; FloatMode: 240
; IeeeMode: 1
; LDSByteSize: 0 bytes/workgroup (compile time only)
; SGPRBlocks: 0
; VGPRBlocks: 0
; NumSGPRsForWavesPerEU: 4
; NumVGPRsForWavesPerEU: 1
; AccumOffset: 4
; Occupancy: 8
; WaveLimiterHint : 0
; COMPUTE_PGM_RSRC2:SCRATCH_EN: 0
; COMPUTE_PGM_RSRC2:USER_SGPR: 6
; COMPUTE_PGM_RSRC2:TRAP_HANDLER: 0
; COMPUTE_PGM_RSRC2:TGID_X_EN: 1
; COMPUTE_PGM_RSRC2:TGID_Y_EN: 0
; COMPUTE_PGM_RSRC2:TGID_Z_EN: 0
; COMPUTE_PGM_RSRC2:TIDIG_COMP_CNT: 0
; COMPUTE_PGM_RSRC3_GFX90A:ACCUM_OFFSET: 0
; COMPUTE_PGM_RSRC3_GFX90A:TG_SPLIT: 0
	.section	.text._ZN7rocprim17ROCPRIM_400000_NS6detail17trampoline_kernelINS0_14default_configENS1_22reduce_config_selectorIiEEZNS1_11reduce_implILb1ES3_PiS7_iN6thrust23THRUST_200600_302600_NS4plusIiEEEE10hipError_tPvRmT1_T2_T3_mT4_P12ihipStream_tbEUlT_E0_NS1_11comp_targetILNS1_3genE8ELNS1_11target_archE1030ELNS1_3gpuE2ELNS1_3repE0EEENS1_30default_config_static_selectorELNS0_4arch9wavefront6targetE1EEEvSF_,"axG",@progbits,_ZN7rocprim17ROCPRIM_400000_NS6detail17trampoline_kernelINS0_14default_configENS1_22reduce_config_selectorIiEEZNS1_11reduce_implILb1ES3_PiS7_iN6thrust23THRUST_200600_302600_NS4plusIiEEEE10hipError_tPvRmT1_T2_T3_mT4_P12ihipStream_tbEUlT_E0_NS1_11comp_targetILNS1_3genE8ELNS1_11target_archE1030ELNS1_3gpuE2ELNS1_3repE0EEENS1_30default_config_static_selectorELNS0_4arch9wavefront6targetE1EEEvSF_,comdat
	.protected	_ZN7rocprim17ROCPRIM_400000_NS6detail17trampoline_kernelINS0_14default_configENS1_22reduce_config_selectorIiEEZNS1_11reduce_implILb1ES3_PiS7_iN6thrust23THRUST_200600_302600_NS4plusIiEEEE10hipError_tPvRmT1_T2_T3_mT4_P12ihipStream_tbEUlT_E0_NS1_11comp_targetILNS1_3genE8ELNS1_11target_archE1030ELNS1_3gpuE2ELNS1_3repE0EEENS1_30default_config_static_selectorELNS0_4arch9wavefront6targetE1EEEvSF_ ; -- Begin function _ZN7rocprim17ROCPRIM_400000_NS6detail17trampoline_kernelINS0_14default_configENS1_22reduce_config_selectorIiEEZNS1_11reduce_implILb1ES3_PiS7_iN6thrust23THRUST_200600_302600_NS4plusIiEEEE10hipError_tPvRmT1_T2_T3_mT4_P12ihipStream_tbEUlT_E0_NS1_11comp_targetILNS1_3genE8ELNS1_11target_archE1030ELNS1_3gpuE2ELNS1_3repE0EEENS1_30default_config_static_selectorELNS0_4arch9wavefront6targetE1EEEvSF_
	.globl	_ZN7rocprim17ROCPRIM_400000_NS6detail17trampoline_kernelINS0_14default_configENS1_22reduce_config_selectorIiEEZNS1_11reduce_implILb1ES3_PiS7_iN6thrust23THRUST_200600_302600_NS4plusIiEEEE10hipError_tPvRmT1_T2_T3_mT4_P12ihipStream_tbEUlT_E0_NS1_11comp_targetILNS1_3genE8ELNS1_11target_archE1030ELNS1_3gpuE2ELNS1_3repE0EEENS1_30default_config_static_selectorELNS0_4arch9wavefront6targetE1EEEvSF_
	.p2align	8
	.type	_ZN7rocprim17ROCPRIM_400000_NS6detail17trampoline_kernelINS0_14default_configENS1_22reduce_config_selectorIiEEZNS1_11reduce_implILb1ES3_PiS7_iN6thrust23THRUST_200600_302600_NS4plusIiEEEE10hipError_tPvRmT1_T2_T3_mT4_P12ihipStream_tbEUlT_E0_NS1_11comp_targetILNS1_3genE8ELNS1_11target_archE1030ELNS1_3gpuE2ELNS1_3repE0EEENS1_30default_config_static_selectorELNS0_4arch9wavefront6targetE1EEEvSF_,@function
_ZN7rocprim17ROCPRIM_400000_NS6detail17trampoline_kernelINS0_14default_configENS1_22reduce_config_selectorIiEEZNS1_11reduce_implILb1ES3_PiS7_iN6thrust23THRUST_200600_302600_NS4plusIiEEEE10hipError_tPvRmT1_T2_T3_mT4_P12ihipStream_tbEUlT_E0_NS1_11comp_targetILNS1_3genE8ELNS1_11target_archE1030ELNS1_3gpuE2ELNS1_3repE0EEENS1_30default_config_static_selectorELNS0_4arch9wavefront6targetE1EEEvSF_: ; @_ZN7rocprim17ROCPRIM_400000_NS6detail17trampoline_kernelINS0_14default_configENS1_22reduce_config_selectorIiEEZNS1_11reduce_implILb1ES3_PiS7_iN6thrust23THRUST_200600_302600_NS4plusIiEEEE10hipError_tPvRmT1_T2_T3_mT4_P12ihipStream_tbEUlT_E0_NS1_11comp_targetILNS1_3genE8ELNS1_11target_archE1030ELNS1_3gpuE2ELNS1_3repE0EEENS1_30default_config_static_selectorELNS0_4arch9wavefront6targetE1EEEvSF_
; %bb.0:
	.section	.rodata,"a",@progbits
	.p2align	6, 0x0
	.amdhsa_kernel _ZN7rocprim17ROCPRIM_400000_NS6detail17trampoline_kernelINS0_14default_configENS1_22reduce_config_selectorIiEEZNS1_11reduce_implILb1ES3_PiS7_iN6thrust23THRUST_200600_302600_NS4plusIiEEEE10hipError_tPvRmT1_T2_T3_mT4_P12ihipStream_tbEUlT_E0_NS1_11comp_targetILNS1_3genE8ELNS1_11target_archE1030ELNS1_3gpuE2ELNS1_3repE0EEENS1_30default_config_static_selectorELNS0_4arch9wavefront6targetE1EEEvSF_
		.amdhsa_group_segment_fixed_size 0
		.amdhsa_private_segment_fixed_size 0
		.amdhsa_kernarg_size 56
		.amdhsa_user_sgpr_count 6
		.amdhsa_user_sgpr_private_segment_buffer 1
		.amdhsa_user_sgpr_dispatch_ptr 0
		.amdhsa_user_sgpr_queue_ptr 0
		.amdhsa_user_sgpr_kernarg_segment_ptr 1
		.amdhsa_user_sgpr_dispatch_id 0
		.amdhsa_user_sgpr_flat_scratch_init 0
		.amdhsa_user_sgpr_kernarg_preload_length 0
		.amdhsa_user_sgpr_kernarg_preload_offset 0
		.amdhsa_user_sgpr_private_segment_size 0
		.amdhsa_uses_dynamic_stack 0
		.amdhsa_system_sgpr_private_segment_wavefront_offset 0
		.amdhsa_system_sgpr_workgroup_id_x 1
		.amdhsa_system_sgpr_workgroup_id_y 0
		.amdhsa_system_sgpr_workgroup_id_z 0
		.amdhsa_system_sgpr_workgroup_info 0
		.amdhsa_system_vgpr_workitem_id 0
		.amdhsa_next_free_vgpr 1
		.amdhsa_next_free_sgpr 0
		.amdhsa_accum_offset 4
		.amdhsa_reserve_vcc 0
		.amdhsa_reserve_flat_scratch 0
		.amdhsa_float_round_mode_32 0
		.amdhsa_float_round_mode_16_64 0
		.amdhsa_float_denorm_mode_32 3
		.amdhsa_float_denorm_mode_16_64 3
		.amdhsa_dx10_clamp 1
		.amdhsa_ieee_mode 1
		.amdhsa_fp16_overflow 0
		.amdhsa_tg_split 0
		.amdhsa_exception_fp_ieee_invalid_op 0
		.amdhsa_exception_fp_denorm_src 0
		.amdhsa_exception_fp_ieee_div_zero 0
		.amdhsa_exception_fp_ieee_overflow 0
		.amdhsa_exception_fp_ieee_underflow 0
		.amdhsa_exception_fp_ieee_inexact 0
		.amdhsa_exception_int_div_zero 0
	.end_amdhsa_kernel
	.section	.text._ZN7rocprim17ROCPRIM_400000_NS6detail17trampoline_kernelINS0_14default_configENS1_22reduce_config_selectorIiEEZNS1_11reduce_implILb1ES3_PiS7_iN6thrust23THRUST_200600_302600_NS4plusIiEEEE10hipError_tPvRmT1_T2_T3_mT4_P12ihipStream_tbEUlT_E0_NS1_11comp_targetILNS1_3genE8ELNS1_11target_archE1030ELNS1_3gpuE2ELNS1_3repE0EEENS1_30default_config_static_selectorELNS0_4arch9wavefront6targetE1EEEvSF_,"axG",@progbits,_ZN7rocprim17ROCPRIM_400000_NS6detail17trampoline_kernelINS0_14default_configENS1_22reduce_config_selectorIiEEZNS1_11reduce_implILb1ES3_PiS7_iN6thrust23THRUST_200600_302600_NS4plusIiEEEE10hipError_tPvRmT1_T2_T3_mT4_P12ihipStream_tbEUlT_E0_NS1_11comp_targetILNS1_3genE8ELNS1_11target_archE1030ELNS1_3gpuE2ELNS1_3repE0EEENS1_30default_config_static_selectorELNS0_4arch9wavefront6targetE1EEEvSF_,comdat
.Lfunc_end8:
	.size	_ZN7rocprim17ROCPRIM_400000_NS6detail17trampoline_kernelINS0_14default_configENS1_22reduce_config_selectorIiEEZNS1_11reduce_implILb1ES3_PiS7_iN6thrust23THRUST_200600_302600_NS4plusIiEEEE10hipError_tPvRmT1_T2_T3_mT4_P12ihipStream_tbEUlT_E0_NS1_11comp_targetILNS1_3genE8ELNS1_11target_archE1030ELNS1_3gpuE2ELNS1_3repE0EEENS1_30default_config_static_selectorELNS0_4arch9wavefront6targetE1EEEvSF_, .Lfunc_end8-_ZN7rocprim17ROCPRIM_400000_NS6detail17trampoline_kernelINS0_14default_configENS1_22reduce_config_selectorIiEEZNS1_11reduce_implILb1ES3_PiS7_iN6thrust23THRUST_200600_302600_NS4plusIiEEEE10hipError_tPvRmT1_T2_T3_mT4_P12ihipStream_tbEUlT_E0_NS1_11comp_targetILNS1_3genE8ELNS1_11target_archE1030ELNS1_3gpuE2ELNS1_3repE0EEENS1_30default_config_static_selectorELNS0_4arch9wavefront6targetE1EEEvSF_
                                        ; -- End function
	.section	.AMDGPU.csdata,"",@progbits
; Kernel info:
; codeLenInByte = 0
; NumSgprs: 4
; NumVgprs: 0
; NumAgprs: 0
; TotalNumVgprs: 0
; ScratchSize: 0
; MemoryBound: 0
; FloatMode: 240
; IeeeMode: 1
; LDSByteSize: 0 bytes/workgroup (compile time only)
; SGPRBlocks: 0
; VGPRBlocks: 0
; NumSGPRsForWavesPerEU: 4
; NumVGPRsForWavesPerEU: 1
; AccumOffset: 4
; Occupancy: 8
; WaveLimiterHint : 0
; COMPUTE_PGM_RSRC2:SCRATCH_EN: 0
; COMPUTE_PGM_RSRC2:USER_SGPR: 6
; COMPUTE_PGM_RSRC2:TRAP_HANDLER: 0
; COMPUTE_PGM_RSRC2:TGID_X_EN: 1
; COMPUTE_PGM_RSRC2:TGID_Y_EN: 0
; COMPUTE_PGM_RSRC2:TGID_Z_EN: 0
; COMPUTE_PGM_RSRC2:TIDIG_COMP_CNT: 0
; COMPUTE_PGM_RSRC3_GFX90A:ACCUM_OFFSET: 0
; COMPUTE_PGM_RSRC3_GFX90A:TG_SPLIT: 0
	.section	.text._ZN7rocprim17ROCPRIM_400000_NS6detail17trampoline_kernelINS0_14default_configENS1_22reduce_config_selectorIiEEZNS1_11reduce_implILb1ES3_PiS7_iN6thrust23THRUST_200600_302600_NS4plusIiEEEE10hipError_tPvRmT1_T2_T3_mT4_P12ihipStream_tbEUlT_E1_NS1_11comp_targetILNS1_3genE0ELNS1_11target_archE4294967295ELNS1_3gpuE0ELNS1_3repE0EEENS1_30default_config_static_selectorELNS0_4arch9wavefront6targetE1EEEvSF_,"axG",@progbits,_ZN7rocprim17ROCPRIM_400000_NS6detail17trampoline_kernelINS0_14default_configENS1_22reduce_config_selectorIiEEZNS1_11reduce_implILb1ES3_PiS7_iN6thrust23THRUST_200600_302600_NS4plusIiEEEE10hipError_tPvRmT1_T2_T3_mT4_P12ihipStream_tbEUlT_E1_NS1_11comp_targetILNS1_3genE0ELNS1_11target_archE4294967295ELNS1_3gpuE0ELNS1_3repE0EEENS1_30default_config_static_selectorELNS0_4arch9wavefront6targetE1EEEvSF_,comdat
	.protected	_ZN7rocprim17ROCPRIM_400000_NS6detail17trampoline_kernelINS0_14default_configENS1_22reduce_config_selectorIiEEZNS1_11reduce_implILb1ES3_PiS7_iN6thrust23THRUST_200600_302600_NS4plusIiEEEE10hipError_tPvRmT1_T2_T3_mT4_P12ihipStream_tbEUlT_E1_NS1_11comp_targetILNS1_3genE0ELNS1_11target_archE4294967295ELNS1_3gpuE0ELNS1_3repE0EEENS1_30default_config_static_selectorELNS0_4arch9wavefront6targetE1EEEvSF_ ; -- Begin function _ZN7rocprim17ROCPRIM_400000_NS6detail17trampoline_kernelINS0_14default_configENS1_22reduce_config_selectorIiEEZNS1_11reduce_implILb1ES3_PiS7_iN6thrust23THRUST_200600_302600_NS4plusIiEEEE10hipError_tPvRmT1_T2_T3_mT4_P12ihipStream_tbEUlT_E1_NS1_11comp_targetILNS1_3genE0ELNS1_11target_archE4294967295ELNS1_3gpuE0ELNS1_3repE0EEENS1_30default_config_static_selectorELNS0_4arch9wavefront6targetE1EEEvSF_
	.globl	_ZN7rocprim17ROCPRIM_400000_NS6detail17trampoline_kernelINS0_14default_configENS1_22reduce_config_selectorIiEEZNS1_11reduce_implILb1ES3_PiS7_iN6thrust23THRUST_200600_302600_NS4plusIiEEEE10hipError_tPvRmT1_T2_T3_mT4_P12ihipStream_tbEUlT_E1_NS1_11comp_targetILNS1_3genE0ELNS1_11target_archE4294967295ELNS1_3gpuE0ELNS1_3repE0EEENS1_30default_config_static_selectorELNS0_4arch9wavefront6targetE1EEEvSF_
	.p2align	8
	.type	_ZN7rocprim17ROCPRIM_400000_NS6detail17trampoline_kernelINS0_14default_configENS1_22reduce_config_selectorIiEEZNS1_11reduce_implILb1ES3_PiS7_iN6thrust23THRUST_200600_302600_NS4plusIiEEEE10hipError_tPvRmT1_T2_T3_mT4_P12ihipStream_tbEUlT_E1_NS1_11comp_targetILNS1_3genE0ELNS1_11target_archE4294967295ELNS1_3gpuE0ELNS1_3repE0EEENS1_30default_config_static_selectorELNS0_4arch9wavefront6targetE1EEEvSF_,@function
_ZN7rocprim17ROCPRIM_400000_NS6detail17trampoline_kernelINS0_14default_configENS1_22reduce_config_selectorIiEEZNS1_11reduce_implILb1ES3_PiS7_iN6thrust23THRUST_200600_302600_NS4plusIiEEEE10hipError_tPvRmT1_T2_T3_mT4_P12ihipStream_tbEUlT_E1_NS1_11comp_targetILNS1_3genE0ELNS1_11target_archE4294967295ELNS1_3gpuE0ELNS1_3repE0EEENS1_30default_config_static_selectorELNS0_4arch9wavefront6targetE1EEEvSF_: ; @_ZN7rocprim17ROCPRIM_400000_NS6detail17trampoline_kernelINS0_14default_configENS1_22reduce_config_selectorIiEEZNS1_11reduce_implILb1ES3_PiS7_iN6thrust23THRUST_200600_302600_NS4plusIiEEEE10hipError_tPvRmT1_T2_T3_mT4_P12ihipStream_tbEUlT_E1_NS1_11comp_targetILNS1_3genE0ELNS1_11target_archE4294967295ELNS1_3gpuE0ELNS1_3repE0EEENS1_30default_config_static_selectorELNS0_4arch9wavefront6targetE1EEEvSF_
; %bb.0:
	.section	.rodata,"a",@progbits
	.p2align	6, 0x0
	.amdhsa_kernel _ZN7rocprim17ROCPRIM_400000_NS6detail17trampoline_kernelINS0_14default_configENS1_22reduce_config_selectorIiEEZNS1_11reduce_implILb1ES3_PiS7_iN6thrust23THRUST_200600_302600_NS4plusIiEEEE10hipError_tPvRmT1_T2_T3_mT4_P12ihipStream_tbEUlT_E1_NS1_11comp_targetILNS1_3genE0ELNS1_11target_archE4294967295ELNS1_3gpuE0ELNS1_3repE0EEENS1_30default_config_static_selectorELNS0_4arch9wavefront6targetE1EEEvSF_
		.amdhsa_group_segment_fixed_size 0
		.amdhsa_private_segment_fixed_size 0
		.amdhsa_kernarg_size 40
		.amdhsa_user_sgpr_count 6
		.amdhsa_user_sgpr_private_segment_buffer 1
		.amdhsa_user_sgpr_dispatch_ptr 0
		.amdhsa_user_sgpr_queue_ptr 0
		.amdhsa_user_sgpr_kernarg_segment_ptr 1
		.amdhsa_user_sgpr_dispatch_id 0
		.amdhsa_user_sgpr_flat_scratch_init 0
		.amdhsa_user_sgpr_kernarg_preload_length 0
		.amdhsa_user_sgpr_kernarg_preload_offset 0
		.amdhsa_user_sgpr_private_segment_size 0
		.amdhsa_uses_dynamic_stack 0
		.amdhsa_system_sgpr_private_segment_wavefront_offset 0
		.amdhsa_system_sgpr_workgroup_id_x 1
		.amdhsa_system_sgpr_workgroup_id_y 0
		.amdhsa_system_sgpr_workgroup_id_z 0
		.amdhsa_system_sgpr_workgroup_info 0
		.amdhsa_system_vgpr_workitem_id 0
		.amdhsa_next_free_vgpr 1
		.amdhsa_next_free_sgpr 0
		.amdhsa_accum_offset 4
		.amdhsa_reserve_vcc 0
		.amdhsa_reserve_flat_scratch 0
		.amdhsa_float_round_mode_32 0
		.amdhsa_float_round_mode_16_64 0
		.amdhsa_float_denorm_mode_32 3
		.amdhsa_float_denorm_mode_16_64 3
		.amdhsa_dx10_clamp 1
		.amdhsa_ieee_mode 1
		.amdhsa_fp16_overflow 0
		.amdhsa_tg_split 0
		.amdhsa_exception_fp_ieee_invalid_op 0
		.amdhsa_exception_fp_denorm_src 0
		.amdhsa_exception_fp_ieee_div_zero 0
		.amdhsa_exception_fp_ieee_overflow 0
		.amdhsa_exception_fp_ieee_underflow 0
		.amdhsa_exception_fp_ieee_inexact 0
		.amdhsa_exception_int_div_zero 0
	.end_amdhsa_kernel
	.section	.text._ZN7rocprim17ROCPRIM_400000_NS6detail17trampoline_kernelINS0_14default_configENS1_22reduce_config_selectorIiEEZNS1_11reduce_implILb1ES3_PiS7_iN6thrust23THRUST_200600_302600_NS4plusIiEEEE10hipError_tPvRmT1_T2_T3_mT4_P12ihipStream_tbEUlT_E1_NS1_11comp_targetILNS1_3genE0ELNS1_11target_archE4294967295ELNS1_3gpuE0ELNS1_3repE0EEENS1_30default_config_static_selectorELNS0_4arch9wavefront6targetE1EEEvSF_,"axG",@progbits,_ZN7rocprim17ROCPRIM_400000_NS6detail17trampoline_kernelINS0_14default_configENS1_22reduce_config_selectorIiEEZNS1_11reduce_implILb1ES3_PiS7_iN6thrust23THRUST_200600_302600_NS4plusIiEEEE10hipError_tPvRmT1_T2_T3_mT4_P12ihipStream_tbEUlT_E1_NS1_11comp_targetILNS1_3genE0ELNS1_11target_archE4294967295ELNS1_3gpuE0ELNS1_3repE0EEENS1_30default_config_static_selectorELNS0_4arch9wavefront6targetE1EEEvSF_,comdat
.Lfunc_end9:
	.size	_ZN7rocprim17ROCPRIM_400000_NS6detail17trampoline_kernelINS0_14default_configENS1_22reduce_config_selectorIiEEZNS1_11reduce_implILb1ES3_PiS7_iN6thrust23THRUST_200600_302600_NS4plusIiEEEE10hipError_tPvRmT1_T2_T3_mT4_P12ihipStream_tbEUlT_E1_NS1_11comp_targetILNS1_3genE0ELNS1_11target_archE4294967295ELNS1_3gpuE0ELNS1_3repE0EEENS1_30default_config_static_selectorELNS0_4arch9wavefront6targetE1EEEvSF_, .Lfunc_end9-_ZN7rocprim17ROCPRIM_400000_NS6detail17trampoline_kernelINS0_14default_configENS1_22reduce_config_selectorIiEEZNS1_11reduce_implILb1ES3_PiS7_iN6thrust23THRUST_200600_302600_NS4plusIiEEEE10hipError_tPvRmT1_T2_T3_mT4_P12ihipStream_tbEUlT_E1_NS1_11comp_targetILNS1_3genE0ELNS1_11target_archE4294967295ELNS1_3gpuE0ELNS1_3repE0EEENS1_30default_config_static_selectorELNS0_4arch9wavefront6targetE1EEEvSF_
                                        ; -- End function
	.section	.AMDGPU.csdata,"",@progbits
; Kernel info:
; codeLenInByte = 0
; NumSgprs: 4
; NumVgprs: 0
; NumAgprs: 0
; TotalNumVgprs: 0
; ScratchSize: 0
; MemoryBound: 0
; FloatMode: 240
; IeeeMode: 1
; LDSByteSize: 0 bytes/workgroup (compile time only)
; SGPRBlocks: 0
; VGPRBlocks: 0
; NumSGPRsForWavesPerEU: 4
; NumVGPRsForWavesPerEU: 1
; AccumOffset: 4
; Occupancy: 8
; WaveLimiterHint : 0
; COMPUTE_PGM_RSRC2:SCRATCH_EN: 0
; COMPUTE_PGM_RSRC2:USER_SGPR: 6
; COMPUTE_PGM_RSRC2:TRAP_HANDLER: 0
; COMPUTE_PGM_RSRC2:TGID_X_EN: 1
; COMPUTE_PGM_RSRC2:TGID_Y_EN: 0
; COMPUTE_PGM_RSRC2:TGID_Z_EN: 0
; COMPUTE_PGM_RSRC2:TIDIG_COMP_CNT: 0
; COMPUTE_PGM_RSRC3_GFX90A:ACCUM_OFFSET: 0
; COMPUTE_PGM_RSRC3_GFX90A:TG_SPLIT: 0
	.section	.text._ZN7rocprim17ROCPRIM_400000_NS6detail17trampoline_kernelINS0_14default_configENS1_22reduce_config_selectorIiEEZNS1_11reduce_implILb1ES3_PiS7_iN6thrust23THRUST_200600_302600_NS4plusIiEEEE10hipError_tPvRmT1_T2_T3_mT4_P12ihipStream_tbEUlT_E1_NS1_11comp_targetILNS1_3genE5ELNS1_11target_archE942ELNS1_3gpuE9ELNS1_3repE0EEENS1_30default_config_static_selectorELNS0_4arch9wavefront6targetE1EEEvSF_,"axG",@progbits,_ZN7rocprim17ROCPRIM_400000_NS6detail17trampoline_kernelINS0_14default_configENS1_22reduce_config_selectorIiEEZNS1_11reduce_implILb1ES3_PiS7_iN6thrust23THRUST_200600_302600_NS4plusIiEEEE10hipError_tPvRmT1_T2_T3_mT4_P12ihipStream_tbEUlT_E1_NS1_11comp_targetILNS1_3genE5ELNS1_11target_archE942ELNS1_3gpuE9ELNS1_3repE0EEENS1_30default_config_static_selectorELNS0_4arch9wavefront6targetE1EEEvSF_,comdat
	.protected	_ZN7rocprim17ROCPRIM_400000_NS6detail17trampoline_kernelINS0_14default_configENS1_22reduce_config_selectorIiEEZNS1_11reduce_implILb1ES3_PiS7_iN6thrust23THRUST_200600_302600_NS4plusIiEEEE10hipError_tPvRmT1_T2_T3_mT4_P12ihipStream_tbEUlT_E1_NS1_11comp_targetILNS1_3genE5ELNS1_11target_archE942ELNS1_3gpuE9ELNS1_3repE0EEENS1_30default_config_static_selectorELNS0_4arch9wavefront6targetE1EEEvSF_ ; -- Begin function _ZN7rocprim17ROCPRIM_400000_NS6detail17trampoline_kernelINS0_14default_configENS1_22reduce_config_selectorIiEEZNS1_11reduce_implILb1ES3_PiS7_iN6thrust23THRUST_200600_302600_NS4plusIiEEEE10hipError_tPvRmT1_T2_T3_mT4_P12ihipStream_tbEUlT_E1_NS1_11comp_targetILNS1_3genE5ELNS1_11target_archE942ELNS1_3gpuE9ELNS1_3repE0EEENS1_30default_config_static_selectorELNS0_4arch9wavefront6targetE1EEEvSF_
	.globl	_ZN7rocprim17ROCPRIM_400000_NS6detail17trampoline_kernelINS0_14default_configENS1_22reduce_config_selectorIiEEZNS1_11reduce_implILb1ES3_PiS7_iN6thrust23THRUST_200600_302600_NS4plusIiEEEE10hipError_tPvRmT1_T2_T3_mT4_P12ihipStream_tbEUlT_E1_NS1_11comp_targetILNS1_3genE5ELNS1_11target_archE942ELNS1_3gpuE9ELNS1_3repE0EEENS1_30default_config_static_selectorELNS0_4arch9wavefront6targetE1EEEvSF_
	.p2align	8
	.type	_ZN7rocprim17ROCPRIM_400000_NS6detail17trampoline_kernelINS0_14default_configENS1_22reduce_config_selectorIiEEZNS1_11reduce_implILb1ES3_PiS7_iN6thrust23THRUST_200600_302600_NS4plusIiEEEE10hipError_tPvRmT1_T2_T3_mT4_P12ihipStream_tbEUlT_E1_NS1_11comp_targetILNS1_3genE5ELNS1_11target_archE942ELNS1_3gpuE9ELNS1_3repE0EEENS1_30default_config_static_selectorELNS0_4arch9wavefront6targetE1EEEvSF_,@function
_ZN7rocprim17ROCPRIM_400000_NS6detail17trampoline_kernelINS0_14default_configENS1_22reduce_config_selectorIiEEZNS1_11reduce_implILb1ES3_PiS7_iN6thrust23THRUST_200600_302600_NS4plusIiEEEE10hipError_tPvRmT1_T2_T3_mT4_P12ihipStream_tbEUlT_E1_NS1_11comp_targetILNS1_3genE5ELNS1_11target_archE942ELNS1_3gpuE9ELNS1_3repE0EEENS1_30default_config_static_selectorELNS0_4arch9wavefront6targetE1EEEvSF_: ; @_ZN7rocprim17ROCPRIM_400000_NS6detail17trampoline_kernelINS0_14default_configENS1_22reduce_config_selectorIiEEZNS1_11reduce_implILb1ES3_PiS7_iN6thrust23THRUST_200600_302600_NS4plusIiEEEE10hipError_tPvRmT1_T2_T3_mT4_P12ihipStream_tbEUlT_E1_NS1_11comp_targetILNS1_3genE5ELNS1_11target_archE942ELNS1_3gpuE9ELNS1_3repE0EEENS1_30default_config_static_selectorELNS0_4arch9wavefront6targetE1EEEvSF_
; %bb.0:
	.section	.rodata,"a",@progbits
	.p2align	6, 0x0
	.amdhsa_kernel _ZN7rocprim17ROCPRIM_400000_NS6detail17trampoline_kernelINS0_14default_configENS1_22reduce_config_selectorIiEEZNS1_11reduce_implILb1ES3_PiS7_iN6thrust23THRUST_200600_302600_NS4plusIiEEEE10hipError_tPvRmT1_T2_T3_mT4_P12ihipStream_tbEUlT_E1_NS1_11comp_targetILNS1_3genE5ELNS1_11target_archE942ELNS1_3gpuE9ELNS1_3repE0EEENS1_30default_config_static_selectorELNS0_4arch9wavefront6targetE1EEEvSF_
		.amdhsa_group_segment_fixed_size 0
		.amdhsa_private_segment_fixed_size 0
		.amdhsa_kernarg_size 40
		.amdhsa_user_sgpr_count 6
		.amdhsa_user_sgpr_private_segment_buffer 1
		.amdhsa_user_sgpr_dispatch_ptr 0
		.amdhsa_user_sgpr_queue_ptr 0
		.amdhsa_user_sgpr_kernarg_segment_ptr 1
		.amdhsa_user_sgpr_dispatch_id 0
		.amdhsa_user_sgpr_flat_scratch_init 0
		.amdhsa_user_sgpr_kernarg_preload_length 0
		.amdhsa_user_sgpr_kernarg_preload_offset 0
		.amdhsa_user_sgpr_private_segment_size 0
		.amdhsa_uses_dynamic_stack 0
		.amdhsa_system_sgpr_private_segment_wavefront_offset 0
		.amdhsa_system_sgpr_workgroup_id_x 1
		.amdhsa_system_sgpr_workgroup_id_y 0
		.amdhsa_system_sgpr_workgroup_id_z 0
		.amdhsa_system_sgpr_workgroup_info 0
		.amdhsa_system_vgpr_workitem_id 0
		.amdhsa_next_free_vgpr 1
		.amdhsa_next_free_sgpr 0
		.amdhsa_accum_offset 4
		.amdhsa_reserve_vcc 0
		.amdhsa_reserve_flat_scratch 0
		.amdhsa_float_round_mode_32 0
		.amdhsa_float_round_mode_16_64 0
		.amdhsa_float_denorm_mode_32 3
		.amdhsa_float_denorm_mode_16_64 3
		.amdhsa_dx10_clamp 1
		.amdhsa_ieee_mode 1
		.amdhsa_fp16_overflow 0
		.amdhsa_tg_split 0
		.amdhsa_exception_fp_ieee_invalid_op 0
		.amdhsa_exception_fp_denorm_src 0
		.amdhsa_exception_fp_ieee_div_zero 0
		.amdhsa_exception_fp_ieee_overflow 0
		.amdhsa_exception_fp_ieee_underflow 0
		.amdhsa_exception_fp_ieee_inexact 0
		.amdhsa_exception_int_div_zero 0
	.end_amdhsa_kernel
	.section	.text._ZN7rocprim17ROCPRIM_400000_NS6detail17trampoline_kernelINS0_14default_configENS1_22reduce_config_selectorIiEEZNS1_11reduce_implILb1ES3_PiS7_iN6thrust23THRUST_200600_302600_NS4plusIiEEEE10hipError_tPvRmT1_T2_T3_mT4_P12ihipStream_tbEUlT_E1_NS1_11comp_targetILNS1_3genE5ELNS1_11target_archE942ELNS1_3gpuE9ELNS1_3repE0EEENS1_30default_config_static_selectorELNS0_4arch9wavefront6targetE1EEEvSF_,"axG",@progbits,_ZN7rocprim17ROCPRIM_400000_NS6detail17trampoline_kernelINS0_14default_configENS1_22reduce_config_selectorIiEEZNS1_11reduce_implILb1ES3_PiS7_iN6thrust23THRUST_200600_302600_NS4plusIiEEEE10hipError_tPvRmT1_T2_T3_mT4_P12ihipStream_tbEUlT_E1_NS1_11comp_targetILNS1_3genE5ELNS1_11target_archE942ELNS1_3gpuE9ELNS1_3repE0EEENS1_30default_config_static_selectorELNS0_4arch9wavefront6targetE1EEEvSF_,comdat
.Lfunc_end10:
	.size	_ZN7rocprim17ROCPRIM_400000_NS6detail17trampoline_kernelINS0_14default_configENS1_22reduce_config_selectorIiEEZNS1_11reduce_implILb1ES3_PiS7_iN6thrust23THRUST_200600_302600_NS4plusIiEEEE10hipError_tPvRmT1_T2_T3_mT4_P12ihipStream_tbEUlT_E1_NS1_11comp_targetILNS1_3genE5ELNS1_11target_archE942ELNS1_3gpuE9ELNS1_3repE0EEENS1_30default_config_static_selectorELNS0_4arch9wavefront6targetE1EEEvSF_, .Lfunc_end10-_ZN7rocprim17ROCPRIM_400000_NS6detail17trampoline_kernelINS0_14default_configENS1_22reduce_config_selectorIiEEZNS1_11reduce_implILb1ES3_PiS7_iN6thrust23THRUST_200600_302600_NS4plusIiEEEE10hipError_tPvRmT1_T2_T3_mT4_P12ihipStream_tbEUlT_E1_NS1_11comp_targetILNS1_3genE5ELNS1_11target_archE942ELNS1_3gpuE9ELNS1_3repE0EEENS1_30default_config_static_selectorELNS0_4arch9wavefront6targetE1EEEvSF_
                                        ; -- End function
	.section	.AMDGPU.csdata,"",@progbits
; Kernel info:
; codeLenInByte = 0
; NumSgprs: 4
; NumVgprs: 0
; NumAgprs: 0
; TotalNumVgprs: 0
; ScratchSize: 0
; MemoryBound: 0
; FloatMode: 240
; IeeeMode: 1
; LDSByteSize: 0 bytes/workgroup (compile time only)
; SGPRBlocks: 0
; VGPRBlocks: 0
; NumSGPRsForWavesPerEU: 4
; NumVGPRsForWavesPerEU: 1
; AccumOffset: 4
; Occupancy: 8
; WaveLimiterHint : 0
; COMPUTE_PGM_RSRC2:SCRATCH_EN: 0
; COMPUTE_PGM_RSRC2:USER_SGPR: 6
; COMPUTE_PGM_RSRC2:TRAP_HANDLER: 0
; COMPUTE_PGM_RSRC2:TGID_X_EN: 1
; COMPUTE_PGM_RSRC2:TGID_Y_EN: 0
; COMPUTE_PGM_RSRC2:TGID_Z_EN: 0
; COMPUTE_PGM_RSRC2:TIDIG_COMP_CNT: 0
; COMPUTE_PGM_RSRC3_GFX90A:ACCUM_OFFSET: 0
; COMPUTE_PGM_RSRC3_GFX90A:TG_SPLIT: 0
	.section	.text._ZN7rocprim17ROCPRIM_400000_NS6detail17trampoline_kernelINS0_14default_configENS1_22reduce_config_selectorIiEEZNS1_11reduce_implILb1ES3_PiS7_iN6thrust23THRUST_200600_302600_NS4plusIiEEEE10hipError_tPvRmT1_T2_T3_mT4_P12ihipStream_tbEUlT_E1_NS1_11comp_targetILNS1_3genE4ELNS1_11target_archE910ELNS1_3gpuE8ELNS1_3repE0EEENS1_30default_config_static_selectorELNS0_4arch9wavefront6targetE1EEEvSF_,"axG",@progbits,_ZN7rocprim17ROCPRIM_400000_NS6detail17trampoline_kernelINS0_14default_configENS1_22reduce_config_selectorIiEEZNS1_11reduce_implILb1ES3_PiS7_iN6thrust23THRUST_200600_302600_NS4plusIiEEEE10hipError_tPvRmT1_T2_T3_mT4_P12ihipStream_tbEUlT_E1_NS1_11comp_targetILNS1_3genE4ELNS1_11target_archE910ELNS1_3gpuE8ELNS1_3repE0EEENS1_30default_config_static_selectorELNS0_4arch9wavefront6targetE1EEEvSF_,comdat
	.protected	_ZN7rocprim17ROCPRIM_400000_NS6detail17trampoline_kernelINS0_14default_configENS1_22reduce_config_selectorIiEEZNS1_11reduce_implILb1ES3_PiS7_iN6thrust23THRUST_200600_302600_NS4plusIiEEEE10hipError_tPvRmT1_T2_T3_mT4_P12ihipStream_tbEUlT_E1_NS1_11comp_targetILNS1_3genE4ELNS1_11target_archE910ELNS1_3gpuE8ELNS1_3repE0EEENS1_30default_config_static_selectorELNS0_4arch9wavefront6targetE1EEEvSF_ ; -- Begin function _ZN7rocprim17ROCPRIM_400000_NS6detail17trampoline_kernelINS0_14default_configENS1_22reduce_config_selectorIiEEZNS1_11reduce_implILb1ES3_PiS7_iN6thrust23THRUST_200600_302600_NS4plusIiEEEE10hipError_tPvRmT1_T2_T3_mT4_P12ihipStream_tbEUlT_E1_NS1_11comp_targetILNS1_3genE4ELNS1_11target_archE910ELNS1_3gpuE8ELNS1_3repE0EEENS1_30default_config_static_selectorELNS0_4arch9wavefront6targetE1EEEvSF_
	.globl	_ZN7rocprim17ROCPRIM_400000_NS6detail17trampoline_kernelINS0_14default_configENS1_22reduce_config_selectorIiEEZNS1_11reduce_implILb1ES3_PiS7_iN6thrust23THRUST_200600_302600_NS4plusIiEEEE10hipError_tPvRmT1_T2_T3_mT4_P12ihipStream_tbEUlT_E1_NS1_11comp_targetILNS1_3genE4ELNS1_11target_archE910ELNS1_3gpuE8ELNS1_3repE0EEENS1_30default_config_static_selectorELNS0_4arch9wavefront6targetE1EEEvSF_
	.p2align	8
	.type	_ZN7rocprim17ROCPRIM_400000_NS6detail17trampoline_kernelINS0_14default_configENS1_22reduce_config_selectorIiEEZNS1_11reduce_implILb1ES3_PiS7_iN6thrust23THRUST_200600_302600_NS4plusIiEEEE10hipError_tPvRmT1_T2_T3_mT4_P12ihipStream_tbEUlT_E1_NS1_11comp_targetILNS1_3genE4ELNS1_11target_archE910ELNS1_3gpuE8ELNS1_3repE0EEENS1_30default_config_static_selectorELNS0_4arch9wavefront6targetE1EEEvSF_,@function
_ZN7rocprim17ROCPRIM_400000_NS6detail17trampoline_kernelINS0_14default_configENS1_22reduce_config_selectorIiEEZNS1_11reduce_implILb1ES3_PiS7_iN6thrust23THRUST_200600_302600_NS4plusIiEEEE10hipError_tPvRmT1_T2_T3_mT4_P12ihipStream_tbEUlT_E1_NS1_11comp_targetILNS1_3genE4ELNS1_11target_archE910ELNS1_3gpuE8ELNS1_3repE0EEENS1_30default_config_static_selectorELNS0_4arch9wavefront6targetE1EEEvSF_: ; @_ZN7rocprim17ROCPRIM_400000_NS6detail17trampoline_kernelINS0_14default_configENS1_22reduce_config_selectorIiEEZNS1_11reduce_implILb1ES3_PiS7_iN6thrust23THRUST_200600_302600_NS4plusIiEEEE10hipError_tPvRmT1_T2_T3_mT4_P12ihipStream_tbEUlT_E1_NS1_11comp_targetILNS1_3genE4ELNS1_11target_archE910ELNS1_3gpuE8ELNS1_3repE0EEENS1_30default_config_static_selectorELNS0_4arch9wavefront6targetE1EEEvSF_
; %bb.0:
	s_load_dword s33, s[4:5], 0x4
	s_load_dwordx4 s[36:39], s[4:5], 0x8
	s_waitcnt lgkmcnt(0)
	s_cmp_lt_i32 s33, 8
	s_cbranch_scc1 .LBB11_11
; %bb.1:
	s_cmp_gt_i32 s33, 15
	s_cbranch_scc0 .LBB11_12
; %bb.2:
	s_cmp_gt_i32 s33, 31
	s_cbranch_scc0 .LBB11_13
; %bb.3:
	s_cmp_eq_u32 s33, 32
	s_mov_b64 s[0:1], 0
	s_cbranch_scc0 .LBB11_14
; %bb.4:
	s_mov_b32 s7, 0
	s_lshl_b32 s8, s6, 12
	s_mov_b32 s9, s7
	s_lshr_b64 s[10:11], s[38:39], 12
	s_lshl_b64 s[2:3], s[8:9], 2
	s_add_u32 s2, s36, s2
	s_addc_u32 s3, s37, s3
	s_cmp_lg_u64 s[10:11], s[6:7]
	s_cbranch_scc0 .LBB11_23
; %bb.5:
	v_lshlrev_b32_e32 v1, 2, v0
	v_mov_b32_e32 v2, s3
	v_add_co_u32_e32 v4, vcc, s2, v1
	global_load_dword v6, v1, s[2:3]
	global_load_dword v7, v1, s[2:3] offset:512
	global_load_dword v8, v1, s[2:3] offset:1024
	;; [unrolled: 1-line block ×7, first 2 shown]
	v_addc_co_u32_e32 v5, vcc, 0, v2, vcc
	v_add_co_u32_e32 v2, vcc, 0x1000, v4
	v_addc_co_u32_e32 v3, vcc, 0, v5, vcc
	global_load_dword v1, v[2:3], off
	global_load_dword v14, v[2:3], off offset:512
	global_load_dword v15, v[2:3], off offset:1024
	global_load_dword v16, v[2:3], off offset:1536
	global_load_dword v17, v[2:3], off offset:2048
	global_load_dword v18, v[2:3], off offset:2560
	global_load_dword v19, v[2:3], off offset:3072
	global_load_dword v20, v[2:3], off offset:3584
	v_add_co_u32_e32 v2, vcc, 0x2000, v4
	v_addc_co_u32_e32 v3, vcc, 0, v5, vcc
	global_load_dword v21, v[2:3], off
	global_load_dword v22, v[2:3], off offset:512
	global_load_dword v23, v[2:3], off offset:1024
	global_load_dword v24, v[2:3], off offset:1536
	global_load_dword v25, v[2:3], off offset:2048
	global_load_dword v26, v[2:3], off offset:2560
	global_load_dword v27, v[2:3], off offset:3072
	global_load_dword v28, v[2:3], off offset:3584
	;; [unrolled: 10-line block ×3, first 2 shown]
	v_mbcnt_lo_u32_b32 v2, -1, 0
	v_mbcnt_hi_u32_b32 v2, -1, v2
	v_lshlrev_b32_e32 v3, 2, v2
	v_cmp_eq_u32_e32 vcc, 0, v2
	s_waitcnt vmcnt(30)
	v_add_u32_e32 v6, v7, v6
	s_waitcnt vmcnt(28)
	v_add3_u32 v6, v6, v8, v9
	s_waitcnt vmcnt(26)
	v_add3_u32 v6, v6, v10, v11
	;; [unrolled: 2-line block ×14, first 2 shown]
	v_or_b32_e32 v4, 0xfc, v3
	s_waitcnt vmcnt(0)
	v_add3_u32 v1, v1, v33, v34
	s_nop 1
	v_add_u32_dpp v1, v1, v1 quad_perm:[1,0,3,2] row_mask:0xf bank_mask:0xf bound_ctrl:1
	s_nop 1
	v_add_u32_dpp v1, v1, v1 quad_perm:[2,3,0,1] row_mask:0xf bank_mask:0xf bound_ctrl:1
	s_nop 1
	v_add_u32_dpp v1, v1, v1 row_ror:4 row_mask:0xf bank_mask:0xf bound_ctrl:1
	s_nop 1
	v_add_u32_dpp v1, v1, v1 row_ror:8 row_mask:0xf bank_mask:0xf bound_ctrl:1
	s_nop 1
	v_add_u32_dpp v1, v1, v1 row_bcast:15 row_mask:0xf bank_mask:0xf bound_ctrl:1
	s_nop 1
	v_add_u32_dpp v1, v1, v1 row_bcast:31 row_mask:0xf bank_mask:0xf bound_ctrl:1
	ds_bpermute_b32 v1, v4, v1
	s_and_saveexec_b64 s[10:11], vcc
	s_cbranch_execz .LBB11_7
; %bb.6:
	v_lshrrev_b32_e32 v4, 4, v0
	v_and_b32_e32 v4, 4, v4
	s_waitcnt lgkmcnt(0)
	ds_write_b32 v4, v1 offset:24
.LBB11_7:
	s_or_b64 exec, exec, s[10:11]
	v_cmp_gt_u32_e32 vcc, 64, v0
	s_waitcnt lgkmcnt(0)
	s_barrier
	s_and_saveexec_b64 s[10:11], vcc
	s_cbranch_execz .LBB11_9
; %bb.8:
	v_and_b32_e32 v1, 1, v2
	v_lshlrev_b32_e32 v1, 2, v1
	ds_read_b32 v1, v1 offset:24
	v_or_b32_e32 v2, 4, v3
	s_waitcnt lgkmcnt(0)
	ds_bpermute_b32 v2, v2, v1
	s_waitcnt lgkmcnt(0)
	v_add_u32_e32 v1, v2, v1
.LBB11_9:
	s_or_b64 exec, exec, s[10:11]
.LBB11_10:
	v_cmp_eq_u32_e64 s[2:3], 0, v0
	s_and_b64 vcc, exec, s[0:1]
	s_cbranch_vccnz .LBB11_15
	s_branch .LBB11_93
.LBB11_11:
	s_mov_b64 s[2:3], 0
                                        ; implicit-def: $vgpr1
	s_cbranch_execnz .LBB11_166
	s_branch .LBB11_224
.LBB11_12:
	s_mov_b64 s[2:3], 0
                                        ; implicit-def: $vgpr1
	s_cbranch_execnz .LBB11_134
	s_branch .LBB11_142
.LBB11_13:
	s_mov_b64 s[0:1], -1
.LBB11_14:
	s_mov_b64 s[2:3], 0
                                        ; implicit-def: $vgpr1
	s_and_b64 vcc, exec, s[0:1]
	s_cbranch_vccz .LBB11_93
.LBB11_15:
	s_cmp_eq_u32 s33, 16
	s_cbranch_scc0 .LBB11_22
; %bb.16:
	s_mov_b32 s7, 0
	s_lshl_b32 s0, s6, 11
	s_mov_b32 s1, s7
	s_lshr_b64 s[2:3], s[38:39], 11
	s_lshl_b64 s[8:9], s[0:1], 2
	s_add_u32 s34, s36, s8
	s_addc_u32 s35, s37, s9
	s_cmp_lg_u64 s[2:3], s[6:7]
	s_cbranch_scc0 .LBB11_94
; %bb.17:
	v_lshlrev_b32_e32 v1, 2, v0
	v_mov_b32_e32 v2, s35
	v_add_co_u32_e32 v3, vcc, s34, v1
	global_load_dword v5, v1, s[34:35]
	global_load_dword v6, v1, s[34:35] offset:512
	global_load_dword v7, v1, s[34:35] offset:1024
	;; [unrolled: 1-line block ×7, first 2 shown]
	v_addc_co_u32_e32 v4, vcc, 0, v2, vcc
	v_add_co_u32_e32 v2, vcc, 0x1000, v3
	v_addc_co_u32_e32 v3, vcc, 0, v4, vcc
	global_load_dword v1, v[2:3], off
	global_load_dword v4, v[2:3], off offset:512
	global_load_dword v13, v[2:3], off offset:1024
	;; [unrolled: 1-line block ×7, first 2 shown]
	v_mbcnt_lo_u32_b32 v2, -1, 0
	v_mbcnt_hi_u32_b32 v2, -1, v2
	v_lshlrev_b32_e32 v3, 2, v2
	v_cmp_eq_u32_e32 vcc, 0, v2
	s_waitcnt vmcnt(14)
	v_add_u32_e32 v5, v6, v5
	s_waitcnt vmcnt(12)
	v_add3_u32 v5, v5, v7, v8
	s_waitcnt vmcnt(10)
	v_add3_u32 v5, v5, v9, v10
	;; [unrolled: 2-line block ×4, first 2 shown]
	v_or_b32_e32 v4, 0xfc, v3
	s_waitcnt vmcnt(4)
	v_add3_u32 v1, v1, v13, v14
	s_waitcnt vmcnt(2)
	v_add3_u32 v1, v1, v15, v16
	;; [unrolled: 2-line block ×3, first 2 shown]
	s_nop 1
	v_add_u32_dpp v1, v1, v1 quad_perm:[1,0,3,2] row_mask:0xf bank_mask:0xf bound_ctrl:1
	s_nop 1
	v_add_u32_dpp v1, v1, v1 quad_perm:[2,3,0,1] row_mask:0xf bank_mask:0xf bound_ctrl:1
	s_nop 1
	v_add_u32_dpp v1, v1, v1 row_ror:4 row_mask:0xf bank_mask:0xf bound_ctrl:1
	s_nop 1
	v_add_u32_dpp v1, v1, v1 row_ror:8 row_mask:0xf bank_mask:0xf bound_ctrl:1
	s_nop 1
	v_add_u32_dpp v1, v1, v1 row_bcast:15 row_mask:0xf bank_mask:0xf bound_ctrl:1
	s_nop 1
	v_add_u32_dpp v1, v1, v1 row_bcast:31 row_mask:0xf bank_mask:0xf bound_ctrl:1
	ds_bpermute_b32 v1, v4, v1
	s_and_saveexec_b64 s[2:3], vcc
	s_cbranch_execz .LBB11_19
; %bb.18:
	v_lshrrev_b32_e32 v4, 4, v0
	v_and_b32_e32 v4, 4, v4
	s_waitcnt lgkmcnt(0)
	ds_write_b32 v4, v1
.LBB11_19:
	s_or_b64 exec, exec, s[2:3]
	v_cmp_gt_u32_e32 vcc, 64, v0
	s_waitcnt lgkmcnt(0)
	s_barrier
	s_and_saveexec_b64 s[2:3], vcc
	s_cbranch_execz .LBB11_21
; %bb.20:
	v_and_b32_e32 v1, 1, v2
	v_lshlrev_b32_e32 v1, 2, v1
	ds_read_b32 v1, v1
	v_or_b32_e32 v2, 4, v3
	s_waitcnt lgkmcnt(0)
	ds_bpermute_b32 v2, v2, v1
	s_waitcnt lgkmcnt(0)
	v_add_u32_e32 v1, v2, v1
.LBB11_21:
	s_or_b64 exec, exec, s[2:3]
	s_mov_b64 s[2:3], 0
	s_branch .LBB11_95
.LBB11_22:
                                        ; implicit-def: $vgpr1
	s_branch .LBB11_142
.LBB11_23:
                                        ; implicit-def: $vgpr1
	s_cbranch_execz .LBB11_10
; %bb.24:
	s_sub_i32 s10, s38, s8
	v_cmp_gt_u32_e32 vcc, s10, v0
                                        ; implicit-def: $vgpr1
	s_and_saveexec_b64 s[8:9], vcc
	s_cbranch_execz .LBB11_26
; %bb.25:
	v_lshlrev_b32_e32 v1, 2, v0
	global_load_dword v1, v1, s[2:3]
.LBB11_26:
	s_or_b64 exec, exec, s[8:9]
	v_or_b32_e32 v2, 0x80, v0
	v_cmp_gt_u32_e32 vcc, s10, v2
	v_mov_b32_e32 v2, 0
	v_mov_b32_e32 v3, 0
	s_and_saveexec_b64 s[8:9], vcc
	s_cbranch_execz .LBB11_28
; %bb.27:
	v_lshlrev_b32_e32 v3, 2, v0
	global_load_dword v3, v3, s[2:3] offset:512
.LBB11_28:
	s_or_b64 exec, exec, s[8:9]
	v_or_b32_e32 v4, 0x100, v0
	v_cmp_gt_u32_e32 vcc, s10, v4
	s_and_saveexec_b64 s[8:9], vcc
	s_cbranch_execz .LBB11_30
; %bb.29:
	v_lshlrev_b32_e32 v2, 2, v0
	global_load_dword v2, v2, s[2:3] offset:1024
.LBB11_30:
	s_or_b64 exec, exec, s[8:9]
	v_or_b32_e32 v4, 0x180, v0
	v_cmp_gt_u32_e32 vcc, s10, v4
	v_mov_b32_e32 v4, 0
	v_mov_b32_e32 v5, 0
	s_and_saveexec_b64 s[8:9], vcc
	s_cbranch_execz .LBB11_32
; %bb.31:
	v_lshlrev_b32_e32 v5, 2, v0
	global_load_dword v5, v5, s[2:3] offset:1536
.LBB11_32:
	s_or_b64 exec, exec, s[8:9]
	v_or_b32_e32 v6, 0x200, v0
	v_cmp_gt_u32_e32 vcc, s10, v6
	s_and_saveexec_b64 s[8:9], vcc
	s_cbranch_execz .LBB11_34
; %bb.33:
	v_lshlrev_b32_e32 v4, 2, v0
	global_load_dword v4, v4, s[2:3] offset:2048
.LBB11_34:
	;; [unrolled: 20-line block ×3, first 2 shown]
	s_or_b64 exec, exec, s[8:9]
	v_or_b32_e32 v8, 0x380, v0
	v_cmp_gt_u32_e32 vcc, s10, v8
	v_mov_b32_e32 v8, 0
	v_mov_b32_e32 v9, 0
	s_and_saveexec_b64 s[8:9], vcc
	s_cbranch_execz .LBB11_40
; %bb.39:
	v_lshlrev_b32_e32 v9, 2, v0
	global_load_dword v9, v9, s[2:3] offset:3584
.LBB11_40:
	s_or_b64 exec, exec, s[8:9]
	v_or_b32_e32 v10, 0x400, v0
	v_cmp_gt_u32_e32 vcc, s10, v10
	s_and_saveexec_b64 s[8:9], vcc
	s_cbranch_execz .LBB11_42
; %bb.41:
	v_lshlrev_b32_e32 v8, 2, v10
	global_load_dword v8, v8, s[2:3]
.LBB11_42:
	s_or_b64 exec, exec, s[8:9]
	v_or_b32_e32 v12, 0x480, v0
	v_cmp_gt_u32_e32 vcc, s10, v12
	v_mov_b32_e32 v10, 0
	v_mov_b32_e32 v11, 0
	s_and_saveexec_b64 s[8:9], vcc
	s_cbranch_execz .LBB11_44
; %bb.43:
	v_lshlrev_b32_e32 v11, 2, v12
	global_load_dword v11, v11, s[2:3]
.LBB11_44:
	s_or_b64 exec, exec, s[8:9]
	v_or_b32_e32 v12, 0x500, v0
	v_cmp_gt_u32_e32 vcc, s10, v12
	s_and_saveexec_b64 s[8:9], vcc
	s_cbranch_execz .LBB11_46
; %bb.45:
	v_lshlrev_b32_e32 v10, 2, v12
	global_load_dword v10, v10, s[2:3]
.LBB11_46:
	s_or_b64 exec, exec, s[8:9]
	v_or_b32_e32 v14, 0x580, v0
	v_cmp_gt_u32_e32 vcc, s10, v14
	v_mov_b32_e32 v12, 0
	v_mov_b32_e32 v13, 0
	s_and_saveexec_b64 s[8:9], vcc
	s_cbranch_execz .LBB11_48
; %bb.47:
	v_lshlrev_b32_e32 v13, 2, v14
	global_load_dword v13, v13, s[2:3]
.LBB11_48:
	;; [unrolled: 20-line block ×11, first 2 shown]
	s_or_b64 exec, exec, s[8:9]
	v_or_b32_e32 v32, 0xf00, v0
	v_cmp_gt_u32_e32 vcc, s10, v32
	s_and_saveexec_b64 s[8:9], vcc
	s_cbranch_execz .LBB11_86
; %bb.85:
	v_lshlrev_b32_e32 v30, 2, v32
	global_load_dword v30, v30, s[2:3]
.LBB11_86:
	s_or_b64 exec, exec, s[8:9]
	v_or_b32_e32 v33, 0xf80, v0
	v_cmp_gt_u32_e32 vcc, s10, v33
	v_mov_b32_e32 v32, 0
	s_and_saveexec_b64 s[8:9], vcc
	s_cbranch_execz .LBB11_88
; %bb.87:
	v_lshlrev_b32_e32 v32, 2, v33
	global_load_dword v32, v32, s[2:3]
.LBB11_88:
	s_or_b64 exec, exec, s[8:9]
	s_waitcnt vmcnt(0)
	v_add_u32_e32 v1, v3, v1
	v_add3_u32 v1, v1, v2, v5
	v_add3_u32 v1, v1, v4, v7
	;; [unrolled: 1-line block ×10, first 2 shown]
	v_mbcnt_lo_u32_b32 v2, -1, 0
	v_add3_u32 v1, v1, v22, v25
	v_mbcnt_hi_u32_b32 v2, -1, v2
	v_add3_u32 v1, v1, v24, v27
	v_and_b32_e32 v3, 63, v2
	v_add3_u32 v1, v1, v26, v29
	v_cmp_ne_u32_e32 vcc, 63, v3
	v_add3_u32 v1, v1, v28, v31
	v_addc_co_u32_e32 v4, vcc, 0, v2, vcc
	v_add3_u32 v1, v1, v30, v32
	v_lshlrev_b32_e32 v4, 2, v4
	ds_bpermute_b32 v4, v4, v1
	s_min_u32 s8, s10, 0x80
	v_and_b32_e32 v5, 64, v0
	v_sub_u32_e64 v5, s8, v5 clamp
	v_add_u32_e32 v6, 1, v3
	v_cmp_lt_u32_e32 vcc, v6, v5
	s_waitcnt lgkmcnt(0)
	v_cndmask_b32_e32 v4, 0, v4, vcc
	v_cmp_gt_u32_e32 vcc, 62, v3
	v_add_u32_e32 v1, v4, v1
	v_cndmask_b32_e64 v4, 0, 1, vcc
	v_lshlrev_b32_e32 v4, 1, v4
	v_add_lshl_u32 v4, v4, v2, 2
	ds_bpermute_b32 v4, v4, v1
	v_add_u32_e32 v6, 2, v3
	v_cmp_lt_u32_e32 vcc, v6, v5
	v_add_u32_e32 v6, 4, v3
	s_waitcnt lgkmcnt(0)
	v_cndmask_b32_e32 v4, 0, v4, vcc
	v_cmp_gt_u32_e32 vcc, 60, v3
	v_add_u32_e32 v1, v1, v4
	v_cndmask_b32_e64 v4, 0, 1, vcc
	v_lshlrev_b32_e32 v4, 2, v4
	v_add_lshl_u32 v4, v4, v2, 2
	ds_bpermute_b32 v4, v4, v1
	v_cmp_lt_u32_e32 vcc, v6, v5
	v_add_u32_e32 v6, 8, v3
	s_waitcnt lgkmcnt(0)
	v_cndmask_b32_e32 v4, 0, v4, vcc
	v_cmp_gt_u32_e32 vcc, 56, v3
	v_add_u32_e32 v1, v1, v4
	v_cndmask_b32_e64 v4, 0, 1, vcc
	v_lshlrev_b32_e32 v4, 3, v4
	v_add_lshl_u32 v4, v4, v2, 2
	ds_bpermute_b32 v4, v4, v1
	;; [unrolled: 10-line block ×3, first 2 shown]
	v_cmp_lt_u32_e32 vcc, v6, v5
	s_waitcnt lgkmcnt(0)
	v_cndmask_b32_e32 v4, 0, v4, vcc
	v_cmp_gt_u32_e32 vcc, 32, v3
	v_add_u32_e32 v1, v1, v4
	v_cndmask_b32_e64 v4, 0, 1, vcc
	v_lshlrev_b32_e32 v4, 5, v4
	v_add_lshl_u32 v4, v4, v2, 2
	ds_bpermute_b32 v4, v4, v1
	v_add_u32_e32 v3, 32, v3
	v_cmp_lt_u32_e32 vcc, v3, v5
	s_waitcnt lgkmcnt(0)
	v_cndmask_b32_e32 v3, 0, v4, vcc
	v_add_u32_e32 v1, v1, v3
	v_cmp_eq_u32_e32 vcc, 0, v2
	s_and_saveexec_b64 s[2:3], vcc
	s_cbranch_execz .LBB11_90
; %bb.89:
	v_lshrrev_b32_e32 v3, 4, v0
	v_and_b32_e32 v3, 4, v3
	ds_write_b32 v3, v1 offset:48
.LBB11_90:
	s_or_b64 exec, exec, s[2:3]
	v_cmp_gt_u32_e32 vcc, 2, v0
	s_waitcnt lgkmcnt(0)
	s_barrier
	s_and_saveexec_b64 s[2:3], vcc
	s_cbranch_execz .LBB11_92
; %bb.91:
	v_lshlrev_b32_e32 v1, 2, v2
	ds_read_b32 v3, v1 offset:48
	v_or_b32_e32 v1, 4, v1
	s_add_i32 s8, s8, 63
	v_and_b32_e32 v2, 1, v2
	s_lshr_b32 s8, s8, 6
	s_waitcnt lgkmcnt(0)
	ds_bpermute_b32 v1, v1, v3
	v_add_u32_e32 v2, 1, v2
	v_cmp_gt_u32_e32 vcc, s8, v2
	s_waitcnt lgkmcnt(0)
	v_cndmask_b32_e32 v1, 0, v1, vcc
	v_add_u32_e32 v1, v1, v3
.LBB11_92:
	s_or_b64 exec, exec, s[2:3]
	v_cmp_eq_u32_e64 s[2:3], 0, v0
	s_and_b64 vcc, exec, s[0:1]
	s_cbranch_vccnz .LBB11_15
.LBB11_93:
	s_branch .LBB11_142
.LBB11_94:
	s_mov_b64 s[2:3], -1
                                        ; implicit-def: $vgpr1
.LBB11_95:
	s_and_b64 vcc, exec, s[2:3]
	s_cbranch_vccz .LBB11_133
; %bb.96:
	s_sub_i32 s42, s38, s0
	v_cmp_gt_u32_e32 vcc, s42, v0
                                        ; implicit-def: $vgpr2_vgpr3_vgpr4_vgpr5_vgpr6_vgpr7_vgpr8_vgpr9_vgpr10_vgpr11_vgpr12_vgpr13_vgpr14_vgpr15_vgpr16_vgpr17
	s_and_saveexec_b64 s[0:1], vcc
	s_cbranch_execz .LBB11_98
; %bb.97:
	v_lshlrev_b32_e32 v1, 2, v0
	global_load_dword v2, v1, s[34:35]
.LBB11_98:
	s_or_b64 exec, exec, s[0:1]
	v_or_b32_e32 v1, 0x80, v0
	v_cmp_gt_u32_e32 vcc, s42, v1
	s_and_saveexec_b64 s[0:1], vcc
	s_cbranch_execz .LBB11_100
; %bb.99:
	v_lshlrev_b32_e32 v1, 2, v0
	global_load_dword v3, v1, s[34:35] offset:512
.LBB11_100:
	s_or_b64 exec, exec, s[0:1]
	v_or_b32_e32 v1, 0x100, v0
	v_cmp_gt_u32_e64 s[0:1], s42, v1
	s_and_saveexec_b64 s[2:3], s[0:1]
	s_cbranch_execz .LBB11_102
; %bb.101:
	v_lshlrev_b32_e32 v1, 2, v0
	global_load_dword v4, v1, s[34:35] offset:1024
.LBB11_102:
	s_or_b64 exec, exec, s[2:3]
	v_or_b32_e32 v1, 0x180, v0
	v_cmp_gt_u32_e64 s[2:3], s42, v1
	s_and_saveexec_b64 s[8:9], s[2:3]
	;; [unrolled: 9-line block ×7, first 2 shown]
	s_cbranch_execz .LBB11_114
; %bb.113:
	v_lshlrev_b32_e32 v1, 2, v1
	global_load_dword v10, v1, s[34:35]
.LBB11_114:
	s_or_b64 exec, exec, s[18:19]
	v_or_b32_e32 v1, 0x480, v0
	v_cmp_gt_u32_e64 s[18:19], s42, v1
	s_and_saveexec_b64 s[20:21], s[18:19]
	s_cbranch_execz .LBB11_116
; %bb.115:
	v_lshlrev_b32_e32 v1, 2, v1
	global_load_dword v11, v1, s[34:35]
.LBB11_116:
	s_or_b64 exec, exec, s[20:21]
	v_or_b32_e32 v1, 0x500, v0
	v_cmp_gt_u32_e64 s[20:21], s42, v1
	s_and_saveexec_b64 s[22:23], s[20:21]
	;; [unrolled: 9-line block ×7, first 2 shown]
	s_cbranch_execz .LBB11_128
; %bb.127:
	v_lshlrev_b32_e32 v1, 2, v1
	global_load_dword v17, v1, s[34:35]
.LBB11_128:
	s_or_b64 exec, exec, s[40:41]
	s_waitcnt vmcnt(0)
	v_cndmask_b32_e32 v1, 0, v3, vcc
	v_add_u32_e32 v1, v1, v2
	v_cndmask_b32_e64 v2, 0, v4, s[0:1]
	v_cndmask_b32_e64 v3, 0, v5, s[2:3]
	v_add3_u32 v1, v1, v2, v3
	v_cndmask_b32_e64 v2, 0, v6, s[8:9]
	v_cndmask_b32_e64 v3, 0, v7, s[10:11]
	v_add3_u32 v1, v1, v2, v3
	;; [unrolled: 3-line block ×7, first 2 shown]
	v_mbcnt_lo_u32_b32 v2, -1, 0
	v_mbcnt_hi_u32_b32 v2, -1, v2
	v_and_b32_e32 v3, 63, v2
	v_cmp_ne_u32_e32 vcc, 63, v3
	v_addc_co_u32_e32 v4, vcc, 0, v2, vcc
	v_lshlrev_b32_e32 v4, 2, v4
	ds_bpermute_b32 v4, v4, v1
	s_min_u32 s2, s42, 0x80
	v_and_b32_e32 v5, 64, v0
	v_sub_u32_e64 v5, s2, v5 clamp
	v_add_u32_e32 v6, 1, v3
	v_cmp_lt_u32_e32 vcc, v6, v5
	s_waitcnt lgkmcnt(0)
	v_cndmask_b32_e32 v4, 0, v4, vcc
	v_cmp_gt_u32_e32 vcc, 62, v3
	v_add_u32_e32 v1, v1, v4
	v_cndmask_b32_e64 v4, 0, 1, vcc
	v_lshlrev_b32_e32 v4, 1, v4
	v_add_lshl_u32 v4, v4, v2, 2
	ds_bpermute_b32 v4, v4, v1
	v_add_u32_e32 v6, 2, v3
	v_cmp_lt_u32_e32 vcc, v6, v5
	v_add_u32_e32 v6, 4, v3
	s_waitcnt lgkmcnt(0)
	v_cndmask_b32_e32 v4, 0, v4, vcc
	v_cmp_gt_u32_e32 vcc, 60, v3
	v_add_u32_e32 v1, v1, v4
	v_cndmask_b32_e64 v4, 0, 1, vcc
	v_lshlrev_b32_e32 v4, 2, v4
	v_add_lshl_u32 v4, v4, v2, 2
	ds_bpermute_b32 v4, v4, v1
	v_cmp_lt_u32_e32 vcc, v6, v5
	v_add_u32_e32 v6, 8, v3
	s_waitcnt lgkmcnt(0)
	v_cndmask_b32_e32 v4, 0, v4, vcc
	v_cmp_gt_u32_e32 vcc, 56, v3
	v_add_u32_e32 v1, v1, v4
	v_cndmask_b32_e64 v4, 0, 1, vcc
	v_lshlrev_b32_e32 v4, 3, v4
	v_add_lshl_u32 v4, v4, v2, 2
	ds_bpermute_b32 v4, v4, v1
	;; [unrolled: 10-line block ×3, first 2 shown]
	v_cmp_lt_u32_e32 vcc, v6, v5
	s_waitcnt lgkmcnt(0)
	v_cndmask_b32_e32 v4, 0, v4, vcc
	v_cmp_gt_u32_e32 vcc, 32, v3
	v_add_u32_e32 v1, v1, v4
	v_cndmask_b32_e64 v4, 0, 1, vcc
	v_lshlrev_b32_e32 v4, 5, v4
	v_add_lshl_u32 v4, v4, v2, 2
	ds_bpermute_b32 v4, v4, v1
	v_add_u32_e32 v3, 32, v3
	v_cmp_lt_u32_e32 vcc, v3, v5
	s_waitcnt lgkmcnt(0)
	v_cndmask_b32_e32 v3, 0, v4, vcc
	v_add_u32_e32 v1, v1, v3
	v_cmp_eq_u32_e32 vcc, 0, v2
	s_and_saveexec_b64 s[0:1], vcc
	s_cbranch_execz .LBB11_130
; %bb.129:
	v_lshrrev_b32_e32 v3, 4, v0
	v_and_b32_e32 v3, 4, v3
	ds_write_b32 v3, v1 offset:48
.LBB11_130:
	s_or_b64 exec, exec, s[0:1]
	v_cmp_gt_u32_e32 vcc, 2, v0
	s_waitcnt lgkmcnt(0)
	s_barrier
	s_and_saveexec_b64 s[0:1], vcc
	s_cbranch_execz .LBB11_132
; %bb.131:
	v_lshlrev_b32_e32 v1, 2, v2
	ds_read_b32 v3, v1 offset:48
	v_or_b32_e32 v1, 4, v1
	s_add_i32 s2, s2, 63
	v_and_b32_e32 v2, 1, v2
	s_lshr_b32 s2, s2, 6
	s_waitcnt lgkmcnt(0)
	ds_bpermute_b32 v1, v1, v3
	v_add_u32_e32 v2, 1, v2
	v_cmp_gt_u32_e32 vcc, s2, v2
	s_waitcnt lgkmcnt(0)
	v_cndmask_b32_e32 v1, 0, v1, vcc
	v_add_u32_e32 v1, v1, v3
.LBB11_132:
	s_or_b64 exec, exec, s[0:1]
.LBB11_133:
	v_cmp_eq_u32_e64 s[2:3], 0, v0
	s_branch .LBB11_142
.LBB11_134:
	s_cmp_eq_u32 s33, 8
	s_cbranch_scc0 .LBB11_141
; %bb.135:
	s_mov_b32 s7, 0
	s_lshl_b32 s0, s6, 10
	s_mov_b32 s1, s7
	s_lshr_b64 s[2:3], s[38:39], 10
	s_lshl_b64 s[8:9], s[0:1], 2
	s_add_u32 s16, s36, s8
	s_addc_u32 s17, s37, s9
	s_cmp_lg_u64 s[2:3], s[6:7]
	s_cbranch_scc0 .LBB11_143
; %bb.136:
	v_lshlrev_b32_e32 v1, 2, v0
	global_load_dword v4, v1, s[16:17]
	global_load_dword v5, v1, s[16:17] offset:512
	global_load_dword v6, v1, s[16:17] offset:1024
	;; [unrolled: 1-line block ×7, first 2 shown]
	v_mbcnt_lo_u32_b32 v1, -1, 0
	v_mbcnt_hi_u32_b32 v2, -1, v1
	v_lshlrev_b32_e32 v3, 2, v2
	v_cmp_eq_u32_e32 vcc, 0, v2
	s_waitcnt vmcnt(6)
	v_add_u32_e32 v1, v5, v4
	v_or_b32_e32 v4, 0xfc, v3
	s_waitcnt vmcnt(4)
	v_add3_u32 v1, v1, v6, v7
	s_waitcnt vmcnt(2)
	v_add3_u32 v1, v1, v8, v9
	;; [unrolled: 2-line block ×3, first 2 shown]
	s_nop 1
	v_add_u32_dpp v1, v1, v1 quad_perm:[1,0,3,2] row_mask:0xf bank_mask:0xf bound_ctrl:1
	s_nop 1
	v_add_u32_dpp v1, v1, v1 quad_perm:[2,3,0,1] row_mask:0xf bank_mask:0xf bound_ctrl:1
	s_nop 1
	v_add_u32_dpp v1, v1, v1 row_ror:4 row_mask:0xf bank_mask:0xf bound_ctrl:1
	s_nop 1
	v_add_u32_dpp v1, v1, v1 row_ror:8 row_mask:0xf bank_mask:0xf bound_ctrl:1
	s_nop 1
	v_add_u32_dpp v1, v1, v1 row_bcast:15 row_mask:0xf bank_mask:0xf bound_ctrl:1
	s_nop 1
	v_add_u32_dpp v1, v1, v1 row_bcast:31 row_mask:0xf bank_mask:0xf bound_ctrl:1
	ds_bpermute_b32 v1, v4, v1
	s_and_saveexec_b64 s[2:3], vcc
	s_cbranch_execz .LBB11_138
; %bb.137:
	v_lshrrev_b32_e32 v4, 4, v0
	v_and_b32_e32 v4, 4, v4
	s_waitcnt lgkmcnt(0)
	ds_write_b32 v4, v1 offset:40
.LBB11_138:
	s_or_b64 exec, exec, s[2:3]
	v_cmp_gt_u32_e32 vcc, 64, v0
	s_waitcnt lgkmcnt(0)
	s_barrier
	s_and_saveexec_b64 s[2:3], vcc
	s_cbranch_execz .LBB11_140
; %bb.139:
	v_and_b32_e32 v1, 1, v2
	v_lshlrev_b32_e32 v1, 2, v1
	ds_read_b32 v1, v1 offset:40
	v_or_b32_e32 v2, 4, v3
	s_waitcnt lgkmcnt(0)
	ds_bpermute_b32 v2, v2, v1
	s_waitcnt lgkmcnt(0)
	v_add_u32_e32 v1, v2, v1
.LBB11_140:
	s_or_b64 exec, exec, s[2:3]
	s_branch .LBB11_165
.LBB11_141:
                                        ; implicit-def: $vgpr1
.LBB11_142:
	s_branch .LBB11_224
.LBB11_143:
                                        ; implicit-def: $vgpr1
	s_cbranch_execz .LBB11_165
; %bb.144:
	s_sub_i32 s20, s38, s0
	v_cmp_gt_u32_e32 vcc, s20, v0
                                        ; implicit-def: $vgpr2_vgpr3_vgpr4_vgpr5_vgpr6_vgpr7_vgpr8_vgpr9
	s_and_saveexec_b64 s[0:1], vcc
	s_cbranch_execz .LBB11_146
; %bb.145:
	v_lshlrev_b32_e32 v1, 2, v0
	global_load_dword v2, v1, s[16:17]
.LBB11_146:
	s_or_b64 exec, exec, s[0:1]
	v_or_b32_e32 v1, 0x80, v0
	v_cmp_gt_u32_e32 vcc, s20, v1
	s_and_saveexec_b64 s[0:1], vcc
	s_cbranch_execz .LBB11_148
; %bb.147:
	v_lshlrev_b32_e32 v1, 2, v0
	global_load_dword v3, v1, s[16:17] offset:512
.LBB11_148:
	s_or_b64 exec, exec, s[0:1]
	v_or_b32_e32 v1, 0x100, v0
	v_cmp_gt_u32_e64 s[0:1], s20, v1
	s_and_saveexec_b64 s[2:3], s[0:1]
	s_cbranch_execz .LBB11_150
; %bb.149:
	v_lshlrev_b32_e32 v1, 2, v0
	global_load_dword v4, v1, s[16:17] offset:1024
.LBB11_150:
	s_or_b64 exec, exec, s[2:3]
	v_or_b32_e32 v1, 0x180, v0
	v_cmp_gt_u32_e64 s[2:3], s20, v1
	s_and_saveexec_b64 s[8:9], s[2:3]
	;; [unrolled: 9-line block ×6, first 2 shown]
	s_cbranch_execz .LBB11_160
; %bb.159:
	v_lshlrev_b32_e32 v1, 2, v0
	global_load_dword v9, v1, s[16:17] offset:3584
.LBB11_160:
	s_or_b64 exec, exec, s[18:19]
	s_waitcnt vmcnt(0)
	v_cndmask_b32_e32 v1, 0, v3, vcc
	v_add_u32_e32 v1, v1, v2
	v_cndmask_b32_e64 v2, 0, v4, s[0:1]
	v_cndmask_b32_e64 v3, 0, v5, s[2:3]
	v_add3_u32 v1, v1, v2, v3
	v_cndmask_b32_e64 v2, 0, v6, s[8:9]
	v_cndmask_b32_e64 v3, 0, v7, s[10:11]
	v_add3_u32 v1, v1, v2, v3
	;; [unrolled: 3-line block ×3, first 2 shown]
	v_mbcnt_lo_u32_b32 v2, -1, 0
	v_mbcnt_hi_u32_b32 v2, -1, v2
	v_and_b32_e32 v3, 63, v2
	v_cmp_ne_u32_e32 vcc, 63, v3
	v_addc_co_u32_e32 v4, vcc, 0, v2, vcc
	v_lshlrev_b32_e32 v4, 2, v4
	ds_bpermute_b32 v4, v4, v1
	s_min_u32 s2, s20, 0x80
	v_and_b32_e32 v5, 64, v0
	v_sub_u32_e64 v5, s2, v5 clamp
	v_add_u32_e32 v6, 1, v3
	v_cmp_lt_u32_e32 vcc, v6, v5
	s_waitcnt lgkmcnt(0)
	v_cndmask_b32_e32 v4, 0, v4, vcc
	v_cmp_gt_u32_e32 vcc, 62, v3
	v_add_u32_e32 v1, v1, v4
	v_cndmask_b32_e64 v4, 0, 1, vcc
	v_lshlrev_b32_e32 v4, 1, v4
	v_add_lshl_u32 v4, v4, v2, 2
	ds_bpermute_b32 v4, v4, v1
	v_add_u32_e32 v6, 2, v3
	v_cmp_lt_u32_e32 vcc, v6, v5
	v_add_u32_e32 v6, 4, v3
	s_waitcnt lgkmcnt(0)
	v_cndmask_b32_e32 v4, 0, v4, vcc
	v_cmp_gt_u32_e32 vcc, 60, v3
	v_add_u32_e32 v1, v1, v4
	v_cndmask_b32_e64 v4, 0, 1, vcc
	v_lshlrev_b32_e32 v4, 2, v4
	v_add_lshl_u32 v4, v4, v2, 2
	ds_bpermute_b32 v4, v4, v1
	v_cmp_lt_u32_e32 vcc, v6, v5
	v_add_u32_e32 v6, 8, v3
	s_waitcnt lgkmcnt(0)
	v_cndmask_b32_e32 v4, 0, v4, vcc
	v_cmp_gt_u32_e32 vcc, 56, v3
	v_add_u32_e32 v1, v1, v4
	v_cndmask_b32_e64 v4, 0, 1, vcc
	v_lshlrev_b32_e32 v4, 3, v4
	v_add_lshl_u32 v4, v4, v2, 2
	ds_bpermute_b32 v4, v4, v1
	;; [unrolled: 10-line block ×3, first 2 shown]
	v_cmp_lt_u32_e32 vcc, v6, v5
	s_waitcnt lgkmcnt(0)
	v_cndmask_b32_e32 v4, 0, v4, vcc
	v_cmp_gt_u32_e32 vcc, 32, v3
	v_add_u32_e32 v1, v1, v4
	v_cndmask_b32_e64 v4, 0, 1, vcc
	v_lshlrev_b32_e32 v4, 5, v4
	v_add_lshl_u32 v4, v4, v2, 2
	ds_bpermute_b32 v4, v4, v1
	v_add_u32_e32 v3, 32, v3
	v_cmp_lt_u32_e32 vcc, v3, v5
	s_waitcnt lgkmcnt(0)
	v_cndmask_b32_e32 v3, 0, v4, vcc
	v_add_u32_e32 v1, v1, v3
	v_cmp_eq_u32_e32 vcc, 0, v2
	s_and_saveexec_b64 s[0:1], vcc
	s_cbranch_execz .LBB11_162
; %bb.161:
	v_lshrrev_b32_e32 v3, 4, v0
	v_and_b32_e32 v3, 4, v3
	ds_write_b32 v3, v1 offset:48
.LBB11_162:
	s_or_b64 exec, exec, s[0:1]
	v_cmp_gt_u32_e32 vcc, 2, v0
	s_waitcnt lgkmcnt(0)
	s_barrier
	s_and_saveexec_b64 s[0:1], vcc
	s_cbranch_execz .LBB11_164
; %bb.163:
	v_lshlrev_b32_e32 v1, 2, v2
	ds_read_b32 v3, v1 offset:48
	v_or_b32_e32 v1, 4, v1
	s_add_i32 s2, s2, 63
	v_and_b32_e32 v2, 1, v2
	s_lshr_b32 s2, s2, 6
	s_waitcnt lgkmcnt(0)
	ds_bpermute_b32 v1, v1, v3
	v_add_u32_e32 v2, 1, v2
	v_cmp_gt_u32_e32 vcc, s2, v2
	s_waitcnt lgkmcnt(0)
	v_cndmask_b32_e32 v1, 0, v1, vcc
	v_add_u32_e32 v1, v1, v3
.LBB11_164:
	s_or_b64 exec, exec, s[0:1]
.LBB11_165:
	v_cmp_eq_u32_e64 s[2:3], 0, v0
	s_branch .LBB11_224
.LBB11_166:
	s_cmp_gt_i32 s33, 1
	s_cbranch_scc0 .LBB11_175
; %bb.167:
	s_cmp_gt_i32 s33, 3
	s_cbranch_scc0 .LBB11_176
; %bb.168:
	s_cmp_eq_u32 s33, 4
	s_cbranch_scc0 .LBB11_177
; %bb.169:
	s_mov_b32 s7, 0
	s_lshl_b32 s0, s6, 9
	s_mov_b32 s1, s7
	s_lshr_b64 s[2:3], s[38:39], 9
	s_lshl_b64 s[8:9], s[0:1], 2
	s_add_u32 s8, s36, s8
	s_addc_u32 s9, s37, s9
	s_cmp_lg_u64 s[2:3], s[6:7]
	s_cbranch_scc0 .LBB11_179
; %bb.170:
	v_lshlrev_b32_e32 v1, 2, v0
	global_load_dword v4, v1, s[8:9]
	global_load_dword v5, v1, s[8:9] offset:512
	global_load_dword v6, v1, s[8:9] offset:1024
	global_load_dword v7, v1, s[8:9] offset:1536
	v_mbcnt_lo_u32_b32 v1, -1, 0
	v_mbcnt_hi_u32_b32 v2, -1, v1
	v_lshlrev_b32_e32 v3, 2, v2
	v_cmp_eq_u32_e32 vcc, 0, v2
	s_waitcnt vmcnt(2)
	v_add_u32_e32 v1, v5, v4
	v_or_b32_e32 v4, 0xfc, v3
	s_waitcnt vmcnt(0)
	v_add3_u32 v1, v1, v6, v7
	s_nop 1
	v_add_u32_dpp v1, v1, v1 quad_perm:[1,0,3,2] row_mask:0xf bank_mask:0xf bound_ctrl:1
	s_nop 1
	v_add_u32_dpp v1, v1, v1 quad_perm:[2,3,0,1] row_mask:0xf bank_mask:0xf bound_ctrl:1
	s_nop 1
	v_add_u32_dpp v1, v1, v1 row_ror:4 row_mask:0xf bank_mask:0xf bound_ctrl:1
	s_nop 1
	v_add_u32_dpp v1, v1, v1 row_ror:8 row_mask:0xf bank_mask:0xf bound_ctrl:1
	s_nop 1
	v_add_u32_dpp v1, v1, v1 row_bcast:15 row_mask:0xf bank_mask:0xf bound_ctrl:1
	s_nop 1
	v_add_u32_dpp v1, v1, v1 row_bcast:31 row_mask:0xf bank_mask:0xf bound_ctrl:1
	ds_bpermute_b32 v1, v4, v1
	s_and_saveexec_b64 s[2:3], vcc
	s_cbranch_execz .LBB11_172
; %bb.171:
	v_lshrrev_b32_e32 v4, 4, v0
	v_and_b32_e32 v4, 4, v4
	s_waitcnt lgkmcnt(0)
	ds_write_b32 v4, v1 offset:32
.LBB11_172:
	s_or_b64 exec, exec, s[2:3]
	v_cmp_gt_u32_e32 vcc, 64, v0
	s_waitcnt lgkmcnt(0)
	s_barrier
	s_and_saveexec_b64 s[2:3], vcc
	s_cbranch_execz .LBB11_174
; %bb.173:
	v_and_b32_e32 v1, 1, v2
	v_lshlrev_b32_e32 v1, 2, v1
	ds_read_b32 v1, v1 offset:32
	v_or_b32_e32 v2, 4, v3
	s_waitcnt lgkmcnt(0)
	ds_bpermute_b32 v2, v2, v1
	s_waitcnt lgkmcnt(0)
	v_add_u32_e32 v1, v2, v1
.LBB11_174:
	s_or_b64 exec, exec, s[2:3]
	s_mov_b64 s[2:3], 0
	s_branch .LBB11_180
.LBB11_175:
                                        ; implicit-def: $vgpr1
	s_cbranch_execnz .LBB11_215
	s_branch .LBB11_224
.LBB11_176:
                                        ; implicit-def: $vgpr1
	s_cbranch_execz .LBB11_178
	s_branch .LBB11_195
.LBB11_177:
                                        ; implicit-def: $vgpr1
.LBB11_178:
	s_branch .LBB11_224
.LBB11_179:
	s_mov_b64 s[2:3], -1
                                        ; implicit-def: $vgpr1
.LBB11_180:
	s_and_b64 vcc, exec, s[2:3]
	s_cbranch_vccz .LBB11_194
; %bb.181:
	s_sub_i32 s12, s38, s0
	v_cmp_gt_u32_e32 vcc, s12, v0
                                        ; implicit-def: $vgpr2_vgpr3_vgpr4_vgpr5
	s_and_saveexec_b64 s[0:1], vcc
	s_cbranch_execz .LBB11_183
; %bb.182:
	v_lshlrev_b32_e32 v1, 2, v0
	global_load_dword v2, v1, s[8:9]
.LBB11_183:
	s_or_b64 exec, exec, s[0:1]
	v_or_b32_e32 v1, 0x80, v0
	v_cmp_gt_u32_e32 vcc, s12, v1
	s_and_saveexec_b64 s[0:1], vcc
	s_cbranch_execz .LBB11_185
; %bb.184:
	v_lshlrev_b32_e32 v1, 2, v0
	global_load_dword v3, v1, s[8:9] offset:512
.LBB11_185:
	s_or_b64 exec, exec, s[0:1]
	v_or_b32_e32 v1, 0x100, v0
	v_cmp_gt_u32_e64 s[0:1], s12, v1
	s_and_saveexec_b64 s[2:3], s[0:1]
	s_cbranch_execz .LBB11_187
; %bb.186:
	v_lshlrev_b32_e32 v1, 2, v0
	global_load_dword v4, v1, s[8:9] offset:1024
.LBB11_187:
	s_or_b64 exec, exec, s[2:3]
	v_or_b32_e32 v1, 0x180, v0
	v_cmp_gt_u32_e64 s[2:3], s12, v1
	s_and_saveexec_b64 s[10:11], s[2:3]
	s_cbranch_execz .LBB11_189
; %bb.188:
	v_lshlrev_b32_e32 v1, 2, v0
	global_load_dword v5, v1, s[8:9] offset:1536
.LBB11_189:
	s_or_b64 exec, exec, s[10:11]
	s_waitcnt vmcnt(0)
	v_cndmask_b32_e32 v1, 0, v3, vcc
	v_add_u32_e32 v1, v1, v2
	v_cndmask_b32_e64 v2, 0, v4, s[0:1]
	v_cndmask_b32_e64 v3, 0, v5, s[2:3]
	v_add3_u32 v1, v1, v2, v3
	v_mbcnt_lo_u32_b32 v2, -1, 0
	v_mbcnt_hi_u32_b32 v2, -1, v2
	v_and_b32_e32 v3, 63, v2
	v_cmp_ne_u32_e32 vcc, 63, v3
	v_addc_co_u32_e32 v4, vcc, 0, v2, vcc
	v_lshlrev_b32_e32 v4, 2, v4
	ds_bpermute_b32 v4, v4, v1
	s_min_u32 s2, s12, 0x80
	v_and_b32_e32 v5, 64, v0
	v_sub_u32_e64 v5, s2, v5 clamp
	v_add_u32_e32 v6, 1, v3
	v_cmp_lt_u32_e32 vcc, v6, v5
	s_waitcnt lgkmcnt(0)
	v_cndmask_b32_e32 v4, 0, v4, vcc
	v_cmp_gt_u32_e32 vcc, 62, v3
	v_add_u32_e32 v1, v4, v1
	v_cndmask_b32_e64 v4, 0, 1, vcc
	v_lshlrev_b32_e32 v4, 1, v4
	v_add_lshl_u32 v4, v4, v2, 2
	ds_bpermute_b32 v4, v4, v1
	v_add_u32_e32 v6, 2, v3
	v_cmp_lt_u32_e32 vcc, v6, v5
	v_add_u32_e32 v6, 4, v3
	s_waitcnt lgkmcnt(0)
	v_cndmask_b32_e32 v4, 0, v4, vcc
	v_cmp_gt_u32_e32 vcc, 60, v3
	v_add_u32_e32 v1, v1, v4
	v_cndmask_b32_e64 v4, 0, 1, vcc
	v_lshlrev_b32_e32 v4, 2, v4
	v_add_lshl_u32 v4, v4, v2, 2
	ds_bpermute_b32 v4, v4, v1
	v_cmp_lt_u32_e32 vcc, v6, v5
	v_add_u32_e32 v6, 8, v3
	s_waitcnt lgkmcnt(0)
	v_cndmask_b32_e32 v4, 0, v4, vcc
	v_cmp_gt_u32_e32 vcc, 56, v3
	v_add_u32_e32 v1, v1, v4
	v_cndmask_b32_e64 v4, 0, 1, vcc
	v_lshlrev_b32_e32 v4, 3, v4
	v_add_lshl_u32 v4, v4, v2, 2
	ds_bpermute_b32 v4, v4, v1
	;; [unrolled: 10-line block ×3, first 2 shown]
	v_cmp_lt_u32_e32 vcc, v6, v5
	s_waitcnt lgkmcnt(0)
	v_cndmask_b32_e32 v4, 0, v4, vcc
	v_cmp_gt_u32_e32 vcc, 32, v3
	v_add_u32_e32 v1, v1, v4
	v_cndmask_b32_e64 v4, 0, 1, vcc
	v_lshlrev_b32_e32 v4, 5, v4
	v_add_lshl_u32 v4, v4, v2, 2
	ds_bpermute_b32 v4, v4, v1
	v_add_u32_e32 v3, 32, v3
	v_cmp_lt_u32_e32 vcc, v3, v5
	s_waitcnt lgkmcnt(0)
	v_cndmask_b32_e32 v3, 0, v4, vcc
	v_add_u32_e32 v1, v1, v3
	v_cmp_eq_u32_e32 vcc, 0, v2
	s_and_saveexec_b64 s[0:1], vcc
	s_cbranch_execz .LBB11_191
; %bb.190:
	v_lshrrev_b32_e32 v3, 4, v0
	v_and_b32_e32 v3, 4, v3
	ds_write_b32 v3, v1 offset:48
.LBB11_191:
	s_or_b64 exec, exec, s[0:1]
	v_cmp_gt_u32_e32 vcc, 2, v0
	s_waitcnt lgkmcnt(0)
	s_barrier
	s_and_saveexec_b64 s[0:1], vcc
	s_cbranch_execz .LBB11_193
; %bb.192:
	v_lshlrev_b32_e32 v1, 2, v2
	ds_read_b32 v3, v1 offset:48
	v_or_b32_e32 v1, 4, v1
	s_add_i32 s2, s2, 63
	v_and_b32_e32 v2, 1, v2
	s_lshr_b32 s2, s2, 6
	s_waitcnt lgkmcnt(0)
	ds_bpermute_b32 v1, v1, v3
	v_add_u32_e32 v2, 1, v2
	v_cmp_gt_u32_e32 vcc, s2, v2
	s_waitcnt lgkmcnt(0)
	v_cndmask_b32_e32 v1, 0, v1, vcc
	v_add_u32_e32 v1, v1, v3
.LBB11_193:
	s_or_b64 exec, exec, s[0:1]
.LBB11_194:
	v_cmp_eq_u32_e64 s[2:3], 0, v0
	s_branch .LBB11_178
.LBB11_195:
	s_cmp_eq_u32 s33, 2
	s_cbranch_scc0 .LBB11_202
; %bb.196:
	s_mov_b32 s7, 0
	s_lshl_b32 s2, s6, 8
	s_mov_b32 s3, s7
	s_lshr_b64 s[8:9], s[38:39], 8
	s_lshl_b64 s[0:1], s[2:3], 2
	s_add_u32 s0, s36, s0
	s_addc_u32 s1, s37, s1
	s_cmp_lg_u64 s[8:9], s[6:7]
	s_cbranch_scc0 .LBB11_203
; %bb.197:
	v_lshlrev_b32_e32 v1, 2, v0
	global_load_dword v4, v1, s[0:1]
	global_load_dword v5, v1, s[0:1] offset:512
	v_mbcnt_lo_u32_b32 v1, -1, 0
	v_mbcnt_hi_u32_b32 v2, -1, v1
	v_lshlrev_b32_e32 v3, 2, v2
	v_cmp_eq_u32_e32 vcc, 0, v2
	s_waitcnt vmcnt(0)
	v_add_u32_e32 v1, v5, v4
	s_nop 1
	v_add_u32_dpp v1, v1, v1 quad_perm:[1,0,3,2] row_mask:0xf bank_mask:0xf bound_ctrl:1
	v_or_b32_e32 v4, 0xfc, v3
	s_nop 0
	v_add_u32_dpp v1, v1, v1 quad_perm:[2,3,0,1] row_mask:0xf bank_mask:0xf bound_ctrl:1
	s_nop 1
	v_add_u32_dpp v1, v1, v1 row_ror:4 row_mask:0xf bank_mask:0xf bound_ctrl:1
	s_nop 1
	v_add_u32_dpp v1, v1, v1 row_ror:8 row_mask:0xf bank_mask:0xf bound_ctrl:1
	s_nop 1
	v_add_u32_dpp v1, v1, v1 row_bcast:15 row_mask:0xf bank_mask:0xf bound_ctrl:1
	s_nop 1
	v_add_u32_dpp v1, v1, v1 row_bcast:31 row_mask:0xf bank_mask:0xf bound_ctrl:1
	ds_bpermute_b32 v1, v4, v1
	s_and_saveexec_b64 s[8:9], vcc
	s_cbranch_execz .LBB11_199
; %bb.198:
	v_lshrrev_b32_e32 v4, 4, v0
	v_and_b32_e32 v4, 4, v4
	s_waitcnt lgkmcnt(0)
	ds_write_b32 v4, v1 offset:16
.LBB11_199:
	s_or_b64 exec, exec, s[8:9]
	v_cmp_gt_u32_e32 vcc, 64, v0
	s_waitcnt lgkmcnt(0)
	s_barrier
	s_and_saveexec_b64 s[8:9], vcc
	s_cbranch_execz .LBB11_201
; %bb.200:
	v_and_b32_e32 v1, 1, v2
	v_lshlrev_b32_e32 v1, 2, v1
	ds_read_b32 v1, v1 offset:16
	v_or_b32_e32 v2, 4, v3
	s_waitcnt lgkmcnt(0)
	ds_bpermute_b32 v2, v2, v1
	s_waitcnt lgkmcnt(0)
	v_add_u32_e32 v1, v2, v1
.LBB11_201:
	s_or_b64 exec, exec, s[8:9]
	s_mov_b64 s[8:9], 0
	s_branch .LBB11_204
.LBB11_202:
                                        ; implicit-def: $vgpr1
	s_branch .LBB11_224
.LBB11_203:
	s_mov_b64 s[8:9], -1
                                        ; implicit-def: $vgpr1
.LBB11_204:
	s_and_b64 vcc, exec, s[8:9]
	s_cbranch_vccz .LBB11_214
; %bb.205:
	s_sub_i32 s8, s38, s2
	v_cmp_gt_u32_e32 vcc, s8, v0
                                        ; implicit-def: $vgpr2_vgpr3
	s_and_saveexec_b64 s[2:3], vcc
	s_cbranch_execz .LBB11_207
; %bb.206:
	v_lshlrev_b32_e32 v1, 2, v0
	global_load_dword v2, v1, s[0:1]
.LBB11_207:
	s_or_b64 exec, exec, s[2:3]
	v_or_b32_e32 v1, 0x80, v0
	v_cmp_gt_u32_e32 vcc, s8, v1
	s_and_saveexec_b64 s[2:3], vcc
	s_cbranch_execz .LBB11_209
; %bb.208:
	v_lshlrev_b32_e32 v1, 2, v0
	global_load_dword v3, v1, s[0:1] offset:512
.LBB11_209:
	s_or_b64 exec, exec, s[2:3]
	s_waitcnt vmcnt(0)
	v_cndmask_b32_e32 v1, 0, v3, vcc
	v_add_u32_e32 v1, v1, v2
	v_mbcnt_lo_u32_b32 v2, -1, 0
	v_mbcnt_hi_u32_b32 v2, -1, v2
	v_and_b32_e32 v3, 63, v2
	v_cmp_ne_u32_e32 vcc, 63, v3
	v_addc_co_u32_e32 v4, vcc, 0, v2, vcc
	v_lshlrev_b32_e32 v4, 2, v4
	ds_bpermute_b32 v4, v4, v1
	s_min_u32 s2, s8, 0x80
	v_and_b32_e32 v5, 64, v0
	v_sub_u32_e64 v5, s2, v5 clamp
	v_add_u32_e32 v6, 1, v3
	v_cmp_lt_u32_e32 vcc, v6, v5
	s_waitcnt lgkmcnt(0)
	v_cndmask_b32_e32 v4, 0, v4, vcc
	v_cmp_gt_u32_e32 vcc, 62, v3
	v_add_u32_e32 v1, v4, v1
	v_cndmask_b32_e64 v4, 0, 1, vcc
	v_lshlrev_b32_e32 v4, 1, v4
	v_add_lshl_u32 v4, v4, v2, 2
	ds_bpermute_b32 v4, v4, v1
	v_add_u32_e32 v6, 2, v3
	v_cmp_lt_u32_e32 vcc, v6, v5
	v_add_u32_e32 v6, 4, v3
	s_waitcnt lgkmcnt(0)
	v_cndmask_b32_e32 v4, 0, v4, vcc
	v_cmp_gt_u32_e32 vcc, 60, v3
	v_add_u32_e32 v1, v1, v4
	v_cndmask_b32_e64 v4, 0, 1, vcc
	v_lshlrev_b32_e32 v4, 2, v4
	v_add_lshl_u32 v4, v4, v2, 2
	ds_bpermute_b32 v4, v4, v1
	v_cmp_lt_u32_e32 vcc, v6, v5
	v_add_u32_e32 v6, 8, v3
	s_waitcnt lgkmcnt(0)
	v_cndmask_b32_e32 v4, 0, v4, vcc
	v_cmp_gt_u32_e32 vcc, 56, v3
	v_add_u32_e32 v1, v1, v4
	v_cndmask_b32_e64 v4, 0, 1, vcc
	v_lshlrev_b32_e32 v4, 3, v4
	v_add_lshl_u32 v4, v4, v2, 2
	ds_bpermute_b32 v4, v4, v1
	;; [unrolled: 10-line block ×3, first 2 shown]
	v_cmp_lt_u32_e32 vcc, v6, v5
	s_waitcnt lgkmcnt(0)
	v_cndmask_b32_e32 v4, 0, v4, vcc
	v_cmp_gt_u32_e32 vcc, 32, v3
	v_add_u32_e32 v1, v1, v4
	v_cndmask_b32_e64 v4, 0, 1, vcc
	v_lshlrev_b32_e32 v4, 5, v4
	v_add_lshl_u32 v4, v4, v2, 2
	ds_bpermute_b32 v4, v4, v1
	v_add_u32_e32 v3, 32, v3
	v_cmp_lt_u32_e32 vcc, v3, v5
	s_waitcnt lgkmcnt(0)
	v_cndmask_b32_e32 v3, 0, v4, vcc
	v_add_u32_e32 v1, v1, v3
	v_cmp_eq_u32_e32 vcc, 0, v2
	s_and_saveexec_b64 s[0:1], vcc
	s_cbranch_execz .LBB11_211
; %bb.210:
	v_lshrrev_b32_e32 v3, 4, v0
	v_and_b32_e32 v3, 4, v3
	ds_write_b32 v3, v1 offset:48
.LBB11_211:
	s_or_b64 exec, exec, s[0:1]
	v_cmp_gt_u32_e32 vcc, 2, v0
	s_waitcnt lgkmcnt(0)
	s_barrier
	s_and_saveexec_b64 s[0:1], vcc
	s_cbranch_execz .LBB11_213
; %bb.212:
	v_lshlrev_b32_e32 v1, 2, v2
	ds_read_b32 v3, v1 offset:48
	v_or_b32_e32 v1, 4, v1
	s_add_i32 s2, s2, 63
	v_and_b32_e32 v2, 1, v2
	s_lshr_b32 s2, s2, 6
	s_waitcnt lgkmcnt(0)
	ds_bpermute_b32 v1, v1, v3
	v_add_u32_e32 v2, 1, v2
	v_cmp_gt_u32_e32 vcc, s2, v2
	s_waitcnt lgkmcnt(0)
	v_cndmask_b32_e32 v1, 0, v1, vcc
	v_add_u32_e32 v1, v1, v3
.LBB11_213:
	s_or_b64 exec, exec, s[0:1]
.LBB11_214:
	v_cmp_eq_u32_e64 s[2:3], 0, v0
	s_branch .LBB11_224
.LBB11_215:
	s_cmp_eq_u32 s33, 1
	s_cbranch_scc0 .LBB11_223
; %bb.216:
	s_mov_b32 s1, 0
	s_lshl_b32 s0, s6, 7
	s_mov_b32 s7, s1
	s_lshr_b64 s[2:3], s[38:39], 7
	s_cmp_lg_u64 s[2:3], s[6:7]
	v_mbcnt_lo_u32_b32 v2, -1, 0
	s_cbranch_scc0 .LBB11_227
; %bb.217:
	s_lshl_b64 s[2:3], s[0:1], 2
	s_add_u32 s2, s36, s2
	s_addc_u32 s3, s37, s3
	v_lshlrev_b32_e32 v1, 2, v0
	global_load_dword v1, v1, s[2:3]
	v_mbcnt_hi_u32_b32 v3, -1, v2
	v_lshlrev_b32_e32 v4, 2, v3
	v_or_b32_e32 v5, 0xfc, v4
	v_cmp_eq_u32_e32 vcc, 0, v3
	s_waitcnt vmcnt(0)
	v_add_u32_dpp v1, v1, v1 quad_perm:[1,0,3,2] row_mask:0xf bank_mask:0xf bound_ctrl:1
	s_nop 1
	v_add_u32_dpp v1, v1, v1 quad_perm:[2,3,0,1] row_mask:0xf bank_mask:0xf bound_ctrl:1
	s_nop 1
	v_add_u32_dpp v1, v1, v1 row_ror:4 row_mask:0xf bank_mask:0xf bound_ctrl:1
	s_nop 1
	v_add_u32_dpp v1, v1, v1 row_ror:8 row_mask:0xf bank_mask:0xf bound_ctrl:1
	s_nop 1
	v_add_u32_dpp v1, v1, v1 row_bcast:15 row_mask:0xf bank_mask:0xf bound_ctrl:1
	s_nop 1
	v_add_u32_dpp v1, v1, v1 row_bcast:31 row_mask:0xf bank_mask:0xf bound_ctrl:1
	ds_bpermute_b32 v1, v5, v1
	s_and_saveexec_b64 s[2:3], vcc
	s_cbranch_execz .LBB11_219
; %bb.218:
	v_lshrrev_b32_e32 v5, 4, v0
	v_and_b32_e32 v5, 4, v5
	s_waitcnt lgkmcnt(0)
	ds_write_b32 v5, v1 offset:8
.LBB11_219:
	s_or_b64 exec, exec, s[2:3]
	v_cmp_gt_u32_e32 vcc, 64, v0
	s_waitcnt lgkmcnt(0)
	s_barrier
	s_and_saveexec_b64 s[2:3], vcc
	s_cbranch_execz .LBB11_221
; %bb.220:
	v_and_b32_e32 v1, 1, v3
	v_lshlrev_b32_e32 v1, 2, v1
	ds_read_b32 v1, v1 offset:8
	v_or_b32_e32 v3, 4, v4
	s_waitcnt lgkmcnt(0)
	ds_bpermute_b32 v3, v3, v1
	s_waitcnt lgkmcnt(0)
	v_add_u32_e32 v1, v3, v1
.LBB11_221:
	s_or_b64 exec, exec, s[2:3]
.LBB11_222:
	v_cmp_eq_u32_e64 s[2:3], 0, v0
	s_and_saveexec_b64 s[0:1], s[2:3]
	s_cbranch_execnz .LBB11_225
	s_branch .LBB11_226
.LBB11_223:
                                        ; implicit-def: $vgpr1
                                        ; implicit-def: $sgpr6_sgpr7
.LBB11_224:
	s_and_saveexec_b64 s[0:1], s[2:3]
	s_cbranch_execz .LBB11_226
.LBB11_225:
	s_load_dwordx2 s[0:1], s[4:5], 0x18
	s_load_dword s8, s[4:5], 0x20
	s_lshl_b64 s[2:3], s[6:7], 2
	v_mov_b32_e32 v0, 0
	s_waitcnt lgkmcnt(0)
	s_add_u32 s0, s0, s2
	s_addc_u32 s1, s1, s3
	s_cmp_lg_u64 s[38:39], 0
	s_cselect_b64 vcc, -1, 0
	v_cndmask_b32_e32 v1, 0, v1, vcc
	v_add_u32_e32 v1, s8, v1
	global_store_dword v0, v1, s[0:1]
.LBB11_226:
	s_endpgm
.LBB11_227:
                                        ; implicit-def: $vgpr1
	s_cbranch_execz .LBB11_222
; %bb.228:
	s_sub_i32 s8, s38, s0
	v_cmp_gt_u32_e32 vcc, s8, v0
                                        ; implicit-def: $vgpr1
	s_and_saveexec_b64 s[2:3], vcc
	s_cbranch_execz .LBB11_230
; %bb.229:
	s_lshl_b64 s[0:1], s[0:1], 2
	s_add_u32 s0, s36, s0
	s_addc_u32 s1, s37, s1
	v_lshlrev_b32_e32 v1, 2, v0
	global_load_dword v1, v1, s[0:1]
.LBB11_230:
	s_or_b64 exec, exec, s[2:3]
	v_mbcnt_hi_u32_b32 v2, -1, v2
	v_and_b32_e32 v3, 63, v2
	v_cmp_ne_u32_e32 vcc, 63, v3
	v_addc_co_u32_e32 v4, vcc, 0, v2, vcc
	v_lshlrev_b32_e32 v4, 2, v4
	s_waitcnt vmcnt(0)
	ds_bpermute_b32 v4, v4, v1
	s_min_u32 s2, s8, 0x80
	v_and_b32_e32 v5, 64, v0
	v_sub_u32_e64 v5, s2, v5 clamp
	v_add_u32_e32 v6, 1, v3
	v_cmp_lt_u32_e32 vcc, v6, v5
	s_waitcnt lgkmcnt(0)
	v_cndmask_b32_e32 v4, 0, v4, vcc
	v_cmp_gt_u32_e32 vcc, 62, v3
	v_add_u32_e32 v1, v4, v1
	v_cndmask_b32_e64 v4, 0, 1, vcc
	v_lshlrev_b32_e32 v4, 1, v4
	v_add_lshl_u32 v4, v4, v2, 2
	ds_bpermute_b32 v4, v4, v1
	v_add_u32_e32 v6, 2, v3
	v_cmp_lt_u32_e32 vcc, v6, v5
	v_add_u32_e32 v6, 4, v3
	s_waitcnt lgkmcnt(0)
	v_cndmask_b32_e32 v4, 0, v4, vcc
	v_cmp_gt_u32_e32 vcc, 60, v3
	v_add_u32_e32 v1, v1, v4
	v_cndmask_b32_e64 v4, 0, 1, vcc
	v_lshlrev_b32_e32 v4, 2, v4
	v_add_lshl_u32 v4, v4, v2, 2
	ds_bpermute_b32 v4, v4, v1
	v_cmp_lt_u32_e32 vcc, v6, v5
	v_add_u32_e32 v6, 8, v3
	s_waitcnt lgkmcnt(0)
	v_cndmask_b32_e32 v4, 0, v4, vcc
	v_cmp_gt_u32_e32 vcc, 56, v3
	v_add_u32_e32 v1, v1, v4
	v_cndmask_b32_e64 v4, 0, 1, vcc
	v_lshlrev_b32_e32 v4, 3, v4
	v_add_lshl_u32 v4, v4, v2, 2
	ds_bpermute_b32 v4, v4, v1
	;; [unrolled: 10-line block ×3, first 2 shown]
	v_cmp_lt_u32_e32 vcc, v6, v5
	s_waitcnt lgkmcnt(0)
	v_cndmask_b32_e32 v4, 0, v4, vcc
	v_cmp_gt_u32_e32 vcc, 32, v3
	v_add_u32_e32 v1, v1, v4
	v_cndmask_b32_e64 v4, 0, 1, vcc
	v_lshlrev_b32_e32 v4, 5, v4
	v_add_lshl_u32 v4, v4, v2, 2
	ds_bpermute_b32 v4, v4, v1
	v_add_u32_e32 v3, 32, v3
	v_cmp_lt_u32_e32 vcc, v3, v5
	s_waitcnt lgkmcnt(0)
	v_cndmask_b32_e32 v3, 0, v4, vcc
	v_add_u32_e32 v1, v1, v3
	v_cmp_eq_u32_e32 vcc, 0, v2
	s_and_saveexec_b64 s[0:1], vcc
	s_cbranch_execz .LBB11_232
; %bb.231:
	v_lshrrev_b32_e32 v3, 4, v0
	v_and_b32_e32 v3, 4, v3
	ds_write_b32 v3, v1 offset:48
.LBB11_232:
	s_or_b64 exec, exec, s[0:1]
	v_cmp_gt_u32_e32 vcc, 2, v0
	s_waitcnt lgkmcnt(0)
	s_barrier
	s_and_saveexec_b64 s[0:1], vcc
	s_cbranch_execz .LBB11_234
; %bb.233:
	v_lshlrev_b32_e32 v1, 2, v2
	ds_read_b32 v3, v1 offset:48
	v_or_b32_e32 v1, 4, v1
	s_add_i32 s2, s2, 63
	v_and_b32_e32 v2, 1, v2
	s_lshr_b32 s2, s2, 6
	s_waitcnt lgkmcnt(0)
	ds_bpermute_b32 v1, v1, v3
	v_add_u32_e32 v2, 1, v2
	v_cmp_gt_u32_e32 vcc, s2, v2
	s_waitcnt lgkmcnt(0)
	v_cndmask_b32_e32 v1, 0, v1, vcc
	v_add_u32_e32 v1, v1, v3
.LBB11_234:
	s_or_b64 exec, exec, s[0:1]
	v_cmp_eq_u32_e64 s[2:3], 0, v0
	s_and_saveexec_b64 s[0:1], s[2:3]
	s_cbranch_execnz .LBB11_225
	s_branch .LBB11_226
	.section	.rodata,"a",@progbits
	.p2align	6, 0x0
	.amdhsa_kernel _ZN7rocprim17ROCPRIM_400000_NS6detail17trampoline_kernelINS0_14default_configENS1_22reduce_config_selectorIiEEZNS1_11reduce_implILb1ES3_PiS7_iN6thrust23THRUST_200600_302600_NS4plusIiEEEE10hipError_tPvRmT1_T2_T3_mT4_P12ihipStream_tbEUlT_E1_NS1_11comp_targetILNS1_3genE4ELNS1_11target_archE910ELNS1_3gpuE8ELNS1_3repE0EEENS1_30default_config_static_selectorELNS0_4arch9wavefront6targetE1EEEvSF_
		.amdhsa_group_segment_fixed_size 56
		.amdhsa_private_segment_fixed_size 0
		.amdhsa_kernarg_size 40
		.amdhsa_user_sgpr_count 6
		.amdhsa_user_sgpr_private_segment_buffer 1
		.amdhsa_user_sgpr_dispatch_ptr 0
		.amdhsa_user_sgpr_queue_ptr 0
		.amdhsa_user_sgpr_kernarg_segment_ptr 1
		.amdhsa_user_sgpr_dispatch_id 0
		.amdhsa_user_sgpr_flat_scratch_init 0
		.amdhsa_user_sgpr_kernarg_preload_length 0
		.amdhsa_user_sgpr_kernarg_preload_offset 0
		.amdhsa_user_sgpr_private_segment_size 0
		.amdhsa_uses_dynamic_stack 0
		.amdhsa_system_sgpr_private_segment_wavefront_offset 0
		.amdhsa_system_sgpr_workgroup_id_x 1
		.amdhsa_system_sgpr_workgroup_id_y 0
		.amdhsa_system_sgpr_workgroup_id_z 0
		.amdhsa_system_sgpr_workgroup_info 0
		.amdhsa_system_vgpr_workitem_id 0
		.amdhsa_next_free_vgpr 35
		.amdhsa_next_free_sgpr 43
		.amdhsa_accum_offset 36
		.amdhsa_reserve_vcc 1
		.amdhsa_reserve_flat_scratch 0
		.amdhsa_float_round_mode_32 0
		.amdhsa_float_round_mode_16_64 0
		.amdhsa_float_denorm_mode_32 3
		.amdhsa_float_denorm_mode_16_64 3
		.amdhsa_dx10_clamp 1
		.amdhsa_ieee_mode 1
		.amdhsa_fp16_overflow 0
		.amdhsa_tg_split 0
		.amdhsa_exception_fp_ieee_invalid_op 0
		.amdhsa_exception_fp_denorm_src 0
		.amdhsa_exception_fp_ieee_div_zero 0
		.amdhsa_exception_fp_ieee_overflow 0
		.amdhsa_exception_fp_ieee_underflow 0
		.amdhsa_exception_fp_ieee_inexact 0
		.amdhsa_exception_int_div_zero 0
	.end_amdhsa_kernel
	.section	.text._ZN7rocprim17ROCPRIM_400000_NS6detail17trampoline_kernelINS0_14default_configENS1_22reduce_config_selectorIiEEZNS1_11reduce_implILb1ES3_PiS7_iN6thrust23THRUST_200600_302600_NS4plusIiEEEE10hipError_tPvRmT1_T2_T3_mT4_P12ihipStream_tbEUlT_E1_NS1_11comp_targetILNS1_3genE4ELNS1_11target_archE910ELNS1_3gpuE8ELNS1_3repE0EEENS1_30default_config_static_selectorELNS0_4arch9wavefront6targetE1EEEvSF_,"axG",@progbits,_ZN7rocprim17ROCPRIM_400000_NS6detail17trampoline_kernelINS0_14default_configENS1_22reduce_config_selectorIiEEZNS1_11reduce_implILb1ES3_PiS7_iN6thrust23THRUST_200600_302600_NS4plusIiEEEE10hipError_tPvRmT1_T2_T3_mT4_P12ihipStream_tbEUlT_E1_NS1_11comp_targetILNS1_3genE4ELNS1_11target_archE910ELNS1_3gpuE8ELNS1_3repE0EEENS1_30default_config_static_selectorELNS0_4arch9wavefront6targetE1EEEvSF_,comdat
.Lfunc_end11:
	.size	_ZN7rocprim17ROCPRIM_400000_NS6detail17trampoline_kernelINS0_14default_configENS1_22reduce_config_selectorIiEEZNS1_11reduce_implILb1ES3_PiS7_iN6thrust23THRUST_200600_302600_NS4plusIiEEEE10hipError_tPvRmT1_T2_T3_mT4_P12ihipStream_tbEUlT_E1_NS1_11comp_targetILNS1_3genE4ELNS1_11target_archE910ELNS1_3gpuE8ELNS1_3repE0EEENS1_30default_config_static_selectorELNS0_4arch9wavefront6targetE1EEEvSF_, .Lfunc_end11-_ZN7rocprim17ROCPRIM_400000_NS6detail17trampoline_kernelINS0_14default_configENS1_22reduce_config_selectorIiEEZNS1_11reduce_implILb1ES3_PiS7_iN6thrust23THRUST_200600_302600_NS4plusIiEEEE10hipError_tPvRmT1_T2_T3_mT4_P12ihipStream_tbEUlT_E1_NS1_11comp_targetILNS1_3genE4ELNS1_11target_archE910ELNS1_3gpuE8ELNS1_3repE0EEENS1_30default_config_static_selectorELNS0_4arch9wavefront6targetE1EEEvSF_
                                        ; -- End function
	.section	.AMDGPU.csdata,"",@progbits
; Kernel info:
; codeLenInByte = 8516
; NumSgprs: 47
; NumVgprs: 35
; NumAgprs: 0
; TotalNumVgprs: 35
; ScratchSize: 0
; MemoryBound: 0
; FloatMode: 240
; IeeeMode: 1
; LDSByteSize: 56 bytes/workgroup (compile time only)
; SGPRBlocks: 5
; VGPRBlocks: 4
; NumSGPRsForWavesPerEU: 47
; NumVGPRsForWavesPerEU: 35
; AccumOffset: 36
; Occupancy: 8
; WaveLimiterHint : 1
; COMPUTE_PGM_RSRC2:SCRATCH_EN: 0
; COMPUTE_PGM_RSRC2:USER_SGPR: 6
; COMPUTE_PGM_RSRC2:TRAP_HANDLER: 0
; COMPUTE_PGM_RSRC2:TGID_X_EN: 1
; COMPUTE_PGM_RSRC2:TGID_Y_EN: 0
; COMPUTE_PGM_RSRC2:TGID_Z_EN: 0
; COMPUTE_PGM_RSRC2:TIDIG_COMP_CNT: 0
; COMPUTE_PGM_RSRC3_GFX90A:ACCUM_OFFSET: 8
; COMPUTE_PGM_RSRC3_GFX90A:TG_SPLIT: 0
	.section	.text._ZN7rocprim17ROCPRIM_400000_NS6detail17trampoline_kernelINS0_14default_configENS1_22reduce_config_selectorIiEEZNS1_11reduce_implILb1ES3_PiS7_iN6thrust23THRUST_200600_302600_NS4plusIiEEEE10hipError_tPvRmT1_T2_T3_mT4_P12ihipStream_tbEUlT_E1_NS1_11comp_targetILNS1_3genE3ELNS1_11target_archE908ELNS1_3gpuE7ELNS1_3repE0EEENS1_30default_config_static_selectorELNS0_4arch9wavefront6targetE1EEEvSF_,"axG",@progbits,_ZN7rocprim17ROCPRIM_400000_NS6detail17trampoline_kernelINS0_14default_configENS1_22reduce_config_selectorIiEEZNS1_11reduce_implILb1ES3_PiS7_iN6thrust23THRUST_200600_302600_NS4plusIiEEEE10hipError_tPvRmT1_T2_T3_mT4_P12ihipStream_tbEUlT_E1_NS1_11comp_targetILNS1_3genE3ELNS1_11target_archE908ELNS1_3gpuE7ELNS1_3repE0EEENS1_30default_config_static_selectorELNS0_4arch9wavefront6targetE1EEEvSF_,comdat
	.protected	_ZN7rocprim17ROCPRIM_400000_NS6detail17trampoline_kernelINS0_14default_configENS1_22reduce_config_selectorIiEEZNS1_11reduce_implILb1ES3_PiS7_iN6thrust23THRUST_200600_302600_NS4plusIiEEEE10hipError_tPvRmT1_T2_T3_mT4_P12ihipStream_tbEUlT_E1_NS1_11comp_targetILNS1_3genE3ELNS1_11target_archE908ELNS1_3gpuE7ELNS1_3repE0EEENS1_30default_config_static_selectorELNS0_4arch9wavefront6targetE1EEEvSF_ ; -- Begin function _ZN7rocprim17ROCPRIM_400000_NS6detail17trampoline_kernelINS0_14default_configENS1_22reduce_config_selectorIiEEZNS1_11reduce_implILb1ES3_PiS7_iN6thrust23THRUST_200600_302600_NS4plusIiEEEE10hipError_tPvRmT1_T2_T3_mT4_P12ihipStream_tbEUlT_E1_NS1_11comp_targetILNS1_3genE3ELNS1_11target_archE908ELNS1_3gpuE7ELNS1_3repE0EEENS1_30default_config_static_selectorELNS0_4arch9wavefront6targetE1EEEvSF_
	.globl	_ZN7rocprim17ROCPRIM_400000_NS6detail17trampoline_kernelINS0_14default_configENS1_22reduce_config_selectorIiEEZNS1_11reduce_implILb1ES3_PiS7_iN6thrust23THRUST_200600_302600_NS4plusIiEEEE10hipError_tPvRmT1_T2_T3_mT4_P12ihipStream_tbEUlT_E1_NS1_11comp_targetILNS1_3genE3ELNS1_11target_archE908ELNS1_3gpuE7ELNS1_3repE0EEENS1_30default_config_static_selectorELNS0_4arch9wavefront6targetE1EEEvSF_
	.p2align	8
	.type	_ZN7rocprim17ROCPRIM_400000_NS6detail17trampoline_kernelINS0_14default_configENS1_22reduce_config_selectorIiEEZNS1_11reduce_implILb1ES3_PiS7_iN6thrust23THRUST_200600_302600_NS4plusIiEEEE10hipError_tPvRmT1_T2_T3_mT4_P12ihipStream_tbEUlT_E1_NS1_11comp_targetILNS1_3genE3ELNS1_11target_archE908ELNS1_3gpuE7ELNS1_3repE0EEENS1_30default_config_static_selectorELNS0_4arch9wavefront6targetE1EEEvSF_,@function
_ZN7rocprim17ROCPRIM_400000_NS6detail17trampoline_kernelINS0_14default_configENS1_22reduce_config_selectorIiEEZNS1_11reduce_implILb1ES3_PiS7_iN6thrust23THRUST_200600_302600_NS4plusIiEEEE10hipError_tPvRmT1_T2_T3_mT4_P12ihipStream_tbEUlT_E1_NS1_11comp_targetILNS1_3genE3ELNS1_11target_archE908ELNS1_3gpuE7ELNS1_3repE0EEENS1_30default_config_static_selectorELNS0_4arch9wavefront6targetE1EEEvSF_: ; @_ZN7rocprim17ROCPRIM_400000_NS6detail17trampoline_kernelINS0_14default_configENS1_22reduce_config_selectorIiEEZNS1_11reduce_implILb1ES3_PiS7_iN6thrust23THRUST_200600_302600_NS4plusIiEEEE10hipError_tPvRmT1_T2_T3_mT4_P12ihipStream_tbEUlT_E1_NS1_11comp_targetILNS1_3genE3ELNS1_11target_archE908ELNS1_3gpuE7ELNS1_3repE0EEENS1_30default_config_static_selectorELNS0_4arch9wavefront6targetE1EEEvSF_
; %bb.0:
	.section	.rodata,"a",@progbits
	.p2align	6, 0x0
	.amdhsa_kernel _ZN7rocprim17ROCPRIM_400000_NS6detail17trampoline_kernelINS0_14default_configENS1_22reduce_config_selectorIiEEZNS1_11reduce_implILb1ES3_PiS7_iN6thrust23THRUST_200600_302600_NS4plusIiEEEE10hipError_tPvRmT1_T2_T3_mT4_P12ihipStream_tbEUlT_E1_NS1_11comp_targetILNS1_3genE3ELNS1_11target_archE908ELNS1_3gpuE7ELNS1_3repE0EEENS1_30default_config_static_selectorELNS0_4arch9wavefront6targetE1EEEvSF_
		.amdhsa_group_segment_fixed_size 0
		.amdhsa_private_segment_fixed_size 0
		.amdhsa_kernarg_size 40
		.amdhsa_user_sgpr_count 6
		.amdhsa_user_sgpr_private_segment_buffer 1
		.amdhsa_user_sgpr_dispatch_ptr 0
		.amdhsa_user_sgpr_queue_ptr 0
		.amdhsa_user_sgpr_kernarg_segment_ptr 1
		.amdhsa_user_sgpr_dispatch_id 0
		.amdhsa_user_sgpr_flat_scratch_init 0
		.amdhsa_user_sgpr_kernarg_preload_length 0
		.amdhsa_user_sgpr_kernarg_preload_offset 0
		.amdhsa_user_sgpr_private_segment_size 0
		.amdhsa_uses_dynamic_stack 0
		.amdhsa_system_sgpr_private_segment_wavefront_offset 0
		.amdhsa_system_sgpr_workgroup_id_x 1
		.amdhsa_system_sgpr_workgroup_id_y 0
		.amdhsa_system_sgpr_workgroup_id_z 0
		.amdhsa_system_sgpr_workgroup_info 0
		.amdhsa_system_vgpr_workitem_id 0
		.amdhsa_next_free_vgpr 1
		.amdhsa_next_free_sgpr 0
		.amdhsa_accum_offset 4
		.amdhsa_reserve_vcc 0
		.amdhsa_reserve_flat_scratch 0
		.amdhsa_float_round_mode_32 0
		.amdhsa_float_round_mode_16_64 0
		.amdhsa_float_denorm_mode_32 3
		.amdhsa_float_denorm_mode_16_64 3
		.amdhsa_dx10_clamp 1
		.amdhsa_ieee_mode 1
		.amdhsa_fp16_overflow 0
		.amdhsa_tg_split 0
		.amdhsa_exception_fp_ieee_invalid_op 0
		.amdhsa_exception_fp_denorm_src 0
		.amdhsa_exception_fp_ieee_div_zero 0
		.amdhsa_exception_fp_ieee_overflow 0
		.amdhsa_exception_fp_ieee_underflow 0
		.amdhsa_exception_fp_ieee_inexact 0
		.amdhsa_exception_int_div_zero 0
	.end_amdhsa_kernel
	.section	.text._ZN7rocprim17ROCPRIM_400000_NS6detail17trampoline_kernelINS0_14default_configENS1_22reduce_config_selectorIiEEZNS1_11reduce_implILb1ES3_PiS7_iN6thrust23THRUST_200600_302600_NS4plusIiEEEE10hipError_tPvRmT1_T2_T3_mT4_P12ihipStream_tbEUlT_E1_NS1_11comp_targetILNS1_3genE3ELNS1_11target_archE908ELNS1_3gpuE7ELNS1_3repE0EEENS1_30default_config_static_selectorELNS0_4arch9wavefront6targetE1EEEvSF_,"axG",@progbits,_ZN7rocprim17ROCPRIM_400000_NS6detail17trampoline_kernelINS0_14default_configENS1_22reduce_config_selectorIiEEZNS1_11reduce_implILb1ES3_PiS7_iN6thrust23THRUST_200600_302600_NS4plusIiEEEE10hipError_tPvRmT1_T2_T3_mT4_P12ihipStream_tbEUlT_E1_NS1_11comp_targetILNS1_3genE3ELNS1_11target_archE908ELNS1_3gpuE7ELNS1_3repE0EEENS1_30default_config_static_selectorELNS0_4arch9wavefront6targetE1EEEvSF_,comdat
.Lfunc_end12:
	.size	_ZN7rocprim17ROCPRIM_400000_NS6detail17trampoline_kernelINS0_14default_configENS1_22reduce_config_selectorIiEEZNS1_11reduce_implILb1ES3_PiS7_iN6thrust23THRUST_200600_302600_NS4plusIiEEEE10hipError_tPvRmT1_T2_T3_mT4_P12ihipStream_tbEUlT_E1_NS1_11comp_targetILNS1_3genE3ELNS1_11target_archE908ELNS1_3gpuE7ELNS1_3repE0EEENS1_30default_config_static_selectorELNS0_4arch9wavefront6targetE1EEEvSF_, .Lfunc_end12-_ZN7rocprim17ROCPRIM_400000_NS6detail17trampoline_kernelINS0_14default_configENS1_22reduce_config_selectorIiEEZNS1_11reduce_implILb1ES3_PiS7_iN6thrust23THRUST_200600_302600_NS4plusIiEEEE10hipError_tPvRmT1_T2_T3_mT4_P12ihipStream_tbEUlT_E1_NS1_11comp_targetILNS1_3genE3ELNS1_11target_archE908ELNS1_3gpuE7ELNS1_3repE0EEENS1_30default_config_static_selectorELNS0_4arch9wavefront6targetE1EEEvSF_
                                        ; -- End function
	.section	.AMDGPU.csdata,"",@progbits
; Kernel info:
; codeLenInByte = 0
; NumSgprs: 4
; NumVgprs: 0
; NumAgprs: 0
; TotalNumVgprs: 0
; ScratchSize: 0
; MemoryBound: 0
; FloatMode: 240
; IeeeMode: 1
; LDSByteSize: 0 bytes/workgroup (compile time only)
; SGPRBlocks: 0
; VGPRBlocks: 0
; NumSGPRsForWavesPerEU: 4
; NumVGPRsForWavesPerEU: 1
; AccumOffset: 4
; Occupancy: 8
; WaveLimiterHint : 0
; COMPUTE_PGM_RSRC2:SCRATCH_EN: 0
; COMPUTE_PGM_RSRC2:USER_SGPR: 6
; COMPUTE_PGM_RSRC2:TRAP_HANDLER: 0
; COMPUTE_PGM_RSRC2:TGID_X_EN: 1
; COMPUTE_PGM_RSRC2:TGID_Y_EN: 0
; COMPUTE_PGM_RSRC2:TGID_Z_EN: 0
; COMPUTE_PGM_RSRC2:TIDIG_COMP_CNT: 0
; COMPUTE_PGM_RSRC3_GFX90A:ACCUM_OFFSET: 0
; COMPUTE_PGM_RSRC3_GFX90A:TG_SPLIT: 0
	.section	.text._ZN7rocprim17ROCPRIM_400000_NS6detail17trampoline_kernelINS0_14default_configENS1_22reduce_config_selectorIiEEZNS1_11reduce_implILb1ES3_PiS7_iN6thrust23THRUST_200600_302600_NS4plusIiEEEE10hipError_tPvRmT1_T2_T3_mT4_P12ihipStream_tbEUlT_E1_NS1_11comp_targetILNS1_3genE2ELNS1_11target_archE906ELNS1_3gpuE6ELNS1_3repE0EEENS1_30default_config_static_selectorELNS0_4arch9wavefront6targetE1EEEvSF_,"axG",@progbits,_ZN7rocprim17ROCPRIM_400000_NS6detail17trampoline_kernelINS0_14default_configENS1_22reduce_config_selectorIiEEZNS1_11reduce_implILb1ES3_PiS7_iN6thrust23THRUST_200600_302600_NS4plusIiEEEE10hipError_tPvRmT1_T2_T3_mT4_P12ihipStream_tbEUlT_E1_NS1_11comp_targetILNS1_3genE2ELNS1_11target_archE906ELNS1_3gpuE6ELNS1_3repE0EEENS1_30default_config_static_selectorELNS0_4arch9wavefront6targetE1EEEvSF_,comdat
	.protected	_ZN7rocprim17ROCPRIM_400000_NS6detail17trampoline_kernelINS0_14default_configENS1_22reduce_config_selectorIiEEZNS1_11reduce_implILb1ES3_PiS7_iN6thrust23THRUST_200600_302600_NS4plusIiEEEE10hipError_tPvRmT1_T2_T3_mT4_P12ihipStream_tbEUlT_E1_NS1_11comp_targetILNS1_3genE2ELNS1_11target_archE906ELNS1_3gpuE6ELNS1_3repE0EEENS1_30default_config_static_selectorELNS0_4arch9wavefront6targetE1EEEvSF_ ; -- Begin function _ZN7rocprim17ROCPRIM_400000_NS6detail17trampoline_kernelINS0_14default_configENS1_22reduce_config_selectorIiEEZNS1_11reduce_implILb1ES3_PiS7_iN6thrust23THRUST_200600_302600_NS4plusIiEEEE10hipError_tPvRmT1_T2_T3_mT4_P12ihipStream_tbEUlT_E1_NS1_11comp_targetILNS1_3genE2ELNS1_11target_archE906ELNS1_3gpuE6ELNS1_3repE0EEENS1_30default_config_static_selectorELNS0_4arch9wavefront6targetE1EEEvSF_
	.globl	_ZN7rocprim17ROCPRIM_400000_NS6detail17trampoline_kernelINS0_14default_configENS1_22reduce_config_selectorIiEEZNS1_11reduce_implILb1ES3_PiS7_iN6thrust23THRUST_200600_302600_NS4plusIiEEEE10hipError_tPvRmT1_T2_T3_mT4_P12ihipStream_tbEUlT_E1_NS1_11comp_targetILNS1_3genE2ELNS1_11target_archE906ELNS1_3gpuE6ELNS1_3repE0EEENS1_30default_config_static_selectorELNS0_4arch9wavefront6targetE1EEEvSF_
	.p2align	8
	.type	_ZN7rocprim17ROCPRIM_400000_NS6detail17trampoline_kernelINS0_14default_configENS1_22reduce_config_selectorIiEEZNS1_11reduce_implILb1ES3_PiS7_iN6thrust23THRUST_200600_302600_NS4plusIiEEEE10hipError_tPvRmT1_T2_T3_mT4_P12ihipStream_tbEUlT_E1_NS1_11comp_targetILNS1_3genE2ELNS1_11target_archE906ELNS1_3gpuE6ELNS1_3repE0EEENS1_30default_config_static_selectorELNS0_4arch9wavefront6targetE1EEEvSF_,@function
_ZN7rocprim17ROCPRIM_400000_NS6detail17trampoline_kernelINS0_14default_configENS1_22reduce_config_selectorIiEEZNS1_11reduce_implILb1ES3_PiS7_iN6thrust23THRUST_200600_302600_NS4plusIiEEEE10hipError_tPvRmT1_T2_T3_mT4_P12ihipStream_tbEUlT_E1_NS1_11comp_targetILNS1_3genE2ELNS1_11target_archE906ELNS1_3gpuE6ELNS1_3repE0EEENS1_30default_config_static_selectorELNS0_4arch9wavefront6targetE1EEEvSF_: ; @_ZN7rocprim17ROCPRIM_400000_NS6detail17trampoline_kernelINS0_14default_configENS1_22reduce_config_selectorIiEEZNS1_11reduce_implILb1ES3_PiS7_iN6thrust23THRUST_200600_302600_NS4plusIiEEEE10hipError_tPvRmT1_T2_T3_mT4_P12ihipStream_tbEUlT_E1_NS1_11comp_targetILNS1_3genE2ELNS1_11target_archE906ELNS1_3gpuE6ELNS1_3repE0EEENS1_30default_config_static_selectorELNS0_4arch9wavefront6targetE1EEEvSF_
; %bb.0:
	.section	.rodata,"a",@progbits
	.p2align	6, 0x0
	.amdhsa_kernel _ZN7rocprim17ROCPRIM_400000_NS6detail17trampoline_kernelINS0_14default_configENS1_22reduce_config_selectorIiEEZNS1_11reduce_implILb1ES3_PiS7_iN6thrust23THRUST_200600_302600_NS4plusIiEEEE10hipError_tPvRmT1_T2_T3_mT4_P12ihipStream_tbEUlT_E1_NS1_11comp_targetILNS1_3genE2ELNS1_11target_archE906ELNS1_3gpuE6ELNS1_3repE0EEENS1_30default_config_static_selectorELNS0_4arch9wavefront6targetE1EEEvSF_
		.amdhsa_group_segment_fixed_size 0
		.amdhsa_private_segment_fixed_size 0
		.amdhsa_kernarg_size 40
		.amdhsa_user_sgpr_count 6
		.amdhsa_user_sgpr_private_segment_buffer 1
		.amdhsa_user_sgpr_dispatch_ptr 0
		.amdhsa_user_sgpr_queue_ptr 0
		.amdhsa_user_sgpr_kernarg_segment_ptr 1
		.amdhsa_user_sgpr_dispatch_id 0
		.amdhsa_user_sgpr_flat_scratch_init 0
		.amdhsa_user_sgpr_kernarg_preload_length 0
		.amdhsa_user_sgpr_kernarg_preload_offset 0
		.amdhsa_user_sgpr_private_segment_size 0
		.amdhsa_uses_dynamic_stack 0
		.amdhsa_system_sgpr_private_segment_wavefront_offset 0
		.amdhsa_system_sgpr_workgroup_id_x 1
		.amdhsa_system_sgpr_workgroup_id_y 0
		.amdhsa_system_sgpr_workgroup_id_z 0
		.amdhsa_system_sgpr_workgroup_info 0
		.amdhsa_system_vgpr_workitem_id 0
		.amdhsa_next_free_vgpr 1
		.amdhsa_next_free_sgpr 0
		.amdhsa_accum_offset 4
		.amdhsa_reserve_vcc 0
		.amdhsa_reserve_flat_scratch 0
		.amdhsa_float_round_mode_32 0
		.amdhsa_float_round_mode_16_64 0
		.amdhsa_float_denorm_mode_32 3
		.amdhsa_float_denorm_mode_16_64 3
		.amdhsa_dx10_clamp 1
		.amdhsa_ieee_mode 1
		.amdhsa_fp16_overflow 0
		.amdhsa_tg_split 0
		.amdhsa_exception_fp_ieee_invalid_op 0
		.amdhsa_exception_fp_denorm_src 0
		.amdhsa_exception_fp_ieee_div_zero 0
		.amdhsa_exception_fp_ieee_overflow 0
		.amdhsa_exception_fp_ieee_underflow 0
		.amdhsa_exception_fp_ieee_inexact 0
		.amdhsa_exception_int_div_zero 0
	.end_amdhsa_kernel
	.section	.text._ZN7rocprim17ROCPRIM_400000_NS6detail17trampoline_kernelINS0_14default_configENS1_22reduce_config_selectorIiEEZNS1_11reduce_implILb1ES3_PiS7_iN6thrust23THRUST_200600_302600_NS4plusIiEEEE10hipError_tPvRmT1_T2_T3_mT4_P12ihipStream_tbEUlT_E1_NS1_11comp_targetILNS1_3genE2ELNS1_11target_archE906ELNS1_3gpuE6ELNS1_3repE0EEENS1_30default_config_static_selectorELNS0_4arch9wavefront6targetE1EEEvSF_,"axG",@progbits,_ZN7rocprim17ROCPRIM_400000_NS6detail17trampoline_kernelINS0_14default_configENS1_22reduce_config_selectorIiEEZNS1_11reduce_implILb1ES3_PiS7_iN6thrust23THRUST_200600_302600_NS4plusIiEEEE10hipError_tPvRmT1_T2_T3_mT4_P12ihipStream_tbEUlT_E1_NS1_11comp_targetILNS1_3genE2ELNS1_11target_archE906ELNS1_3gpuE6ELNS1_3repE0EEENS1_30default_config_static_selectorELNS0_4arch9wavefront6targetE1EEEvSF_,comdat
.Lfunc_end13:
	.size	_ZN7rocprim17ROCPRIM_400000_NS6detail17trampoline_kernelINS0_14default_configENS1_22reduce_config_selectorIiEEZNS1_11reduce_implILb1ES3_PiS7_iN6thrust23THRUST_200600_302600_NS4plusIiEEEE10hipError_tPvRmT1_T2_T3_mT4_P12ihipStream_tbEUlT_E1_NS1_11comp_targetILNS1_3genE2ELNS1_11target_archE906ELNS1_3gpuE6ELNS1_3repE0EEENS1_30default_config_static_selectorELNS0_4arch9wavefront6targetE1EEEvSF_, .Lfunc_end13-_ZN7rocprim17ROCPRIM_400000_NS6detail17trampoline_kernelINS0_14default_configENS1_22reduce_config_selectorIiEEZNS1_11reduce_implILb1ES3_PiS7_iN6thrust23THRUST_200600_302600_NS4plusIiEEEE10hipError_tPvRmT1_T2_T3_mT4_P12ihipStream_tbEUlT_E1_NS1_11comp_targetILNS1_3genE2ELNS1_11target_archE906ELNS1_3gpuE6ELNS1_3repE0EEENS1_30default_config_static_selectorELNS0_4arch9wavefront6targetE1EEEvSF_
                                        ; -- End function
	.section	.AMDGPU.csdata,"",@progbits
; Kernel info:
; codeLenInByte = 0
; NumSgprs: 4
; NumVgprs: 0
; NumAgprs: 0
; TotalNumVgprs: 0
; ScratchSize: 0
; MemoryBound: 0
; FloatMode: 240
; IeeeMode: 1
; LDSByteSize: 0 bytes/workgroup (compile time only)
; SGPRBlocks: 0
; VGPRBlocks: 0
; NumSGPRsForWavesPerEU: 4
; NumVGPRsForWavesPerEU: 1
; AccumOffset: 4
; Occupancy: 8
; WaveLimiterHint : 0
; COMPUTE_PGM_RSRC2:SCRATCH_EN: 0
; COMPUTE_PGM_RSRC2:USER_SGPR: 6
; COMPUTE_PGM_RSRC2:TRAP_HANDLER: 0
; COMPUTE_PGM_RSRC2:TGID_X_EN: 1
; COMPUTE_PGM_RSRC2:TGID_Y_EN: 0
; COMPUTE_PGM_RSRC2:TGID_Z_EN: 0
; COMPUTE_PGM_RSRC2:TIDIG_COMP_CNT: 0
; COMPUTE_PGM_RSRC3_GFX90A:ACCUM_OFFSET: 0
; COMPUTE_PGM_RSRC3_GFX90A:TG_SPLIT: 0
	.section	.text._ZN7rocprim17ROCPRIM_400000_NS6detail17trampoline_kernelINS0_14default_configENS1_22reduce_config_selectorIiEEZNS1_11reduce_implILb1ES3_PiS7_iN6thrust23THRUST_200600_302600_NS4plusIiEEEE10hipError_tPvRmT1_T2_T3_mT4_P12ihipStream_tbEUlT_E1_NS1_11comp_targetILNS1_3genE10ELNS1_11target_archE1201ELNS1_3gpuE5ELNS1_3repE0EEENS1_30default_config_static_selectorELNS0_4arch9wavefront6targetE1EEEvSF_,"axG",@progbits,_ZN7rocprim17ROCPRIM_400000_NS6detail17trampoline_kernelINS0_14default_configENS1_22reduce_config_selectorIiEEZNS1_11reduce_implILb1ES3_PiS7_iN6thrust23THRUST_200600_302600_NS4plusIiEEEE10hipError_tPvRmT1_T2_T3_mT4_P12ihipStream_tbEUlT_E1_NS1_11comp_targetILNS1_3genE10ELNS1_11target_archE1201ELNS1_3gpuE5ELNS1_3repE0EEENS1_30default_config_static_selectorELNS0_4arch9wavefront6targetE1EEEvSF_,comdat
	.protected	_ZN7rocprim17ROCPRIM_400000_NS6detail17trampoline_kernelINS0_14default_configENS1_22reduce_config_selectorIiEEZNS1_11reduce_implILb1ES3_PiS7_iN6thrust23THRUST_200600_302600_NS4plusIiEEEE10hipError_tPvRmT1_T2_T3_mT4_P12ihipStream_tbEUlT_E1_NS1_11comp_targetILNS1_3genE10ELNS1_11target_archE1201ELNS1_3gpuE5ELNS1_3repE0EEENS1_30default_config_static_selectorELNS0_4arch9wavefront6targetE1EEEvSF_ ; -- Begin function _ZN7rocprim17ROCPRIM_400000_NS6detail17trampoline_kernelINS0_14default_configENS1_22reduce_config_selectorIiEEZNS1_11reduce_implILb1ES3_PiS7_iN6thrust23THRUST_200600_302600_NS4plusIiEEEE10hipError_tPvRmT1_T2_T3_mT4_P12ihipStream_tbEUlT_E1_NS1_11comp_targetILNS1_3genE10ELNS1_11target_archE1201ELNS1_3gpuE5ELNS1_3repE0EEENS1_30default_config_static_selectorELNS0_4arch9wavefront6targetE1EEEvSF_
	.globl	_ZN7rocprim17ROCPRIM_400000_NS6detail17trampoline_kernelINS0_14default_configENS1_22reduce_config_selectorIiEEZNS1_11reduce_implILb1ES3_PiS7_iN6thrust23THRUST_200600_302600_NS4plusIiEEEE10hipError_tPvRmT1_T2_T3_mT4_P12ihipStream_tbEUlT_E1_NS1_11comp_targetILNS1_3genE10ELNS1_11target_archE1201ELNS1_3gpuE5ELNS1_3repE0EEENS1_30default_config_static_selectorELNS0_4arch9wavefront6targetE1EEEvSF_
	.p2align	8
	.type	_ZN7rocprim17ROCPRIM_400000_NS6detail17trampoline_kernelINS0_14default_configENS1_22reduce_config_selectorIiEEZNS1_11reduce_implILb1ES3_PiS7_iN6thrust23THRUST_200600_302600_NS4plusIiEEEE10hipError_tPvRmT1_T2_T3_mT4_P12ihipStream_tbEUlT_E1_NS1_11comp_targetILNS1_3genE10ELNS1_11target_archE1201ELNS1_3gpuE5ELNS1_3repE0EEENS1_30default_config_static_selectorELNS0_4arch9wavefront6targetE1EEEvSF_,@function
_ZN7rocprim17ROCPRIM_400000_NS6detail17trampoline_kernelINS0_14default_configENS1_22reduce_config_selectorIiEEZNS1_11reduce_implILb1ES3_PiS7_iN6thrust23THRUST_200600_302600_NS4plusIiEEEE10hipError_tPvRmT1_T2_T3_mT4_P12ihipStream_tbEUlT_E1_NS1_11comp_targetILNS1_3genE10ELNS1_11target_archE1201ELNS1_3gpuE5ELNS1_3repE0EEENS1_30default_config_static_selectorELNS0_4arch9wavefront6targetE1EEEvSF_: ; @_ZN7rocprim17ROCPRIM_400000_NS6detail17trampoline_kernelINS0_14default_configENS1_22reduce_config_selectorIiEEZNS1_11reduce_implILb1ES3_PiS7_iN6thrust23THRUST_200600_302600_NS4plusIiEEEE10hipError_tPvRmT1_T2_T3_mT4_P12ihipStream_tbEUlT_E1_NS1_11comp_targetILNS1_3genE10ELNS1_11target_archE1201ELNS1_3gpuE5ELNS1_3repE0EEENS1_30default_config_static_selectorELNS0_4arch9wavefront6targetE1EEEvSF_
; %bb.0:
	.section	.rodata,"a",@progbits
	.p2align	6, 0x0
	.amdhsa_kernel _ZN7rocprim17ROCPRIM_400000_NS6detail17trampoline_kernelINS0_14default_configENS1_22reduce_config_selectorIiEEZNS1_11reduce_implILb1ES3_PiS7_iN6thrust23THRUST_200600_302600_NS4plusIiEEEE10hipError_tPvRmT1_T2_T3_mT4_P12ihipStream_tbEUlT_E1_NS1_11comp_targetILNS1_3genE10ELNS1_11target_archE1201ELNS1_3gpuE5ELNS1_3repE0EEENS1_30default_config_static_selectorELNS0_4arch9wavefront6targetE1EEEvSF_
		.amdhsa_group_segment_fixed_size 0
		.amdhsa_private_segment_fixed_size 0
		.amdhsa_kernarg_size 40
		.amdhsa_user_sgpr_count 6
		.amdhsa_user_sgpr_private_segment_buffer 1
		.amdhsa_user_sgpr_dispatch_ptr 0
		.amdhsa_user_sgpr_queue_ptr 0
		.amdhsa_user_sgpr_kernarg_segment_ptr 1
		.amdhsa_user_sgpr_dispatch_id 0
		.amdhsa_user_sgpr_flat_scratch_init 0
		.amdhsa_user_sgpr_kernarg_preload_length 0
		.amdhsa_user_sgpr_kernarg_preload_offset 0
		.amdhsa_user_sgpr_private_segment_size 0
		.amdhsa_uses_dynamic_stack 0
		.amdhsa_system_sgpr_private_segment_wavefront_offset 0
		.amdhsa_system_sgpr_workgroup_id_x 1
		.amdhsa_system_sgpr_workgroup_id_y 0
		.amdhsa_system_sgpr_workgroup_id_z 0
		.amdhsa_system_sgpr_workgroup_info 0
		.amdhsa_system_vgpr_workitem_id 0
		.amdhsa_next_free_vgpr 1
		.amdhsa_next_free_sgpr 0
		.amdhsa_accum_offset 4
		.amdhsa_reserve_vcc 0
		.amdhsa_reserve_flat_scratch 0
		.amdhsa_float_round_mode_32 0
		.amdhsa_float_round_mode_16_64 0
		.amdhsa_float_denorm_mode_32 3
		.amdhsa_float_denorm_mode_16_64 3
		.amdhsa_dx10_clamp 1
		.amdhsa_ieee_mode 1
		.amdhsa_fp16_overflow 0
		.amdhsa_tg_split 0
		.amdhsa_exception_fp_ieee_invalid_op 0
		.amdhsa_exception_fp_denorm_src 0
		.amdhsa_exception_fp_ieee_div_zero 0
		.amdhsa_exception_fp_ieee_overflow 0
		.amdhsa_exception_fp_ieee_underflow 0
		.amdhsa_exception_fp_ieee_inexact 0
		.amdhsa_exception_int_div_zero 0
	.end_amdhsa_kernel
	.section	.text._ZN7rocprim17ROCPRIM_400000_NS6detail17trampoline_kernelINS0_14default_configENS1_22reduce_config_selectorIiEEZNS1_11reduce_implILb1ES3_PiS7_iN6thrust23THRUST_200600_302600_NS4plusIiEEEE10hipError_tPvRmT1_T2_T3_mT4_P12ihipStream_tbEUlT_E1_NS1_11comp_targetILNS1_3genE10ELNS1_11target_archE1201ELNS1_3gpuE5ELNS1_3repE0EEENS1_30default_config_static_selectorELNS0_4arch9wavefront6targetE1EEEvSF_,"axG",@progbits,_ZN7rocprim17ROCPRIM_400000_NS6detail17trampoline_kernelINS0_14default_configENS1_22reduce_config_selectorIiEEZNS1_11reduce_implILb1ES3_PiS7_iN6thrust23THRUST_200600_302600_NS4plusIiEEEE10hipError_tPvRmT1_T2_T3_mT4_P12ihipStream_tbEUlT_E1_NS1_11comp_targetILNS1_3genE10ELNS1_11target_archE1201ELNS1_3gpuE5ELNS1_3repE0EEENS1_30default_config_static_selectorELNS0_4arch9wavefront6targetE1EEEvSF_,comdat
.Lfunc_end14:
	.size	_ZN7rocprim17ROCPRIM_400000_NS6detail17trampoline_kernelINS0_14default_configENS1_22reduce_config_selectorIiEEZNS1_11reduce_implILb1ES3_PiS7_iN6thrust23THRUST_200600_302600_NS4plusIiEEEE10hipError_tPvRmT1_T2_T3_mT4_P12ihipStream_tbEUlT_E1_NS1_11comp_targetILNS1_3genE10ELNS1_11target_archE1201ELNS1_3gpuE5ELNS1_3repE0EEENS1_30default_config_static_selectorELNS0_4arch9wavefront6targetE1EEEvSF_, .Lfunc_end14-_ZN7rocprim17ROCPRIM_400000_NS6detail17trampoline_kernelINS0_14default_configENS1_22reduce_config_selectorIiEEZNS1_11reduce_implILb1ES3_PiS7_iN6thrust23THRUST_200600_302600_NS4plusIiEEEE10hipError_tPvRmT1_T2_T3_mT4_P12ihipStream_tbEUlT_E1_NS1_11comp_targetILNS1_3genE10ELNS1_11target_archE1201ELNS1_3gpuE5ELNS1_3repE0EEENS1_30default_config_static_selectorELNS0_4arch9wavefront6targetE1EEEvSF_
                                        ; -- End function
	.section	.AMDGPU.csdata,"",@progbits
; Kernel info:
; codeLenInByte = 0
; NumSgprs: 4
; NumVgprs: 0
; NumAgprs: 0
; TotalNumVgprs: 0
; ScratchSize: 0
; MemoryBound: 0
; FloatMode: 240
; IeeeMode: 1
; LDSByteSize: 0 bytes/workgroup (compile time only)
; SGPRBlocks: 0
; VGPRBlocks: 0
; NumSGPRsForWavesPerEU: 4
; NumVGPRsForWavesPerEU: 1
; AccumOffset: 4
; Occupancy: 8
; WaveLimiterHint : 0
; COMPUTE_PGM_RSRC2:SCRATCH_EN: 0
; COMPUTE_PGM_RSRC2:USER_SGPR: 6
; COMPUTE_PGM_RSRC2:TRAP_HANDLER: 0
; COMPUTE_PGM_RSRC2:TGID_X_EN: 1
; COMPUTE_PGM_RSRC2:TGID_Y_EN: 0
; COMPUTE_PGM_RSRC2:TGID_Z_EN: 0
; COMPUTE_PGM_RSRC2:TIDIG_COMP_CNT: 0
; COMPUTE_PGM_RSRC3_GFX90A:ACCUM_OFFSET: 0
; COMPUTE_PGM_RSRC3_GFX90A:TG_SPLIT: 0
	.section	.text._ZN7rocprim17ROCPRIM_400000_NS6detail17trampoline_kernelINS0_14default_configENS1_22reduce_config_selectorIiEEZNS1_11reduce_implILb1ES3_PiS7_iN6thrust23THRUST_200600_302600_NS4plusIiEEEE10hipError_tPvRmT1_T2_T3_mT4_P12ihipStream_tbEUlT_E1_NS1_11comp_targetILNS1_3genE10ELNS1_11target_archE1200ELNS1_3gpuE4ELNS1_3repE0EEENS1_30default_config_static_selectorELNS0_4arch9wavefront6targetE1EEEvSF_,"axG",@progbits,_ZN7rocprim17ROCPRIM_400000_NS6detail17trampoline_kernelINS0_14default_configENS1_22reduce_config_selectorIiEEZNS1_11reduce_implILb1ES3_PiS7_iN6thrust23THRUST_200600_302600_NS4plusIiEEEE10hipError_tPvRmT1_T2_T3_mT4_P12ihipStream_tbEUlT_E1_NS1_11comp_targetILNS1_3genE10ELNS1_11target_archE1200ELNS1_3gpuE4ELNS1_3repE0EEENS1_30default_config_static_selectorELNS0_4arch9wavefront6targetE1EEEvSF_,comdat
	.protected	_ZN7rocprim17ROCPRIM_400000_NS6detail17trampoline_kernelINS0_14default_configENS1_22reduce_config_selectorIiEEZNS1_11reduce_implILb1ES3_PiS7_iN6thrust23THRUST_200600_302600_NS4plusIiEEEE10hipError_tPvRmT1_T2_T3_mT4_P12ihipStream_tbEUlT_E1_NS1_11comp_targetILNS1_3genE10ELNS1_11target_archE1200ELNS1_3gpuE4ELNS1_3repE0EEENS1_30default_config_static_selectorELNS0_4arch9wavefront6targetE1EEEvSF_ ; -- Begin function _ZN7rocprim17ROCPRIM_400000_NS6detail17trampoline_kernelINS0_14default_configENS1_22reduce_config_selectorIiEEZNS1_11reduce_implILb1ES3_PiS7_iN6thrust23THRUST_200600_302600_NS4plusIiEEEE10hipError_tPvRmT1_T2_T3_mT4_P12ihipStream_tbEUlT_E1_NS1_11comp_targetILNS1_3genE10ELNS1_11target_archE1200ELNS1_3gpuE4ELNS1_3repE0EEENS1_30default_config_static_selectorELNS0_4arch9wavefront6targetE1EEEvSF_
	.globl	_ZN7rocprim17ROCPRIM_400000_NS6detail17trampoline_kernelINS0_14default_configENS1_22reduce_config_selectorIiEEZNS1_11reduce_implILb1ES3_PiS7_iN6thrust23THRUST_200600_302600_NS4plusIiEEEE10hipError_tPvRmT1_T2_T3_mT4_P12ihipStream_tbEUlT_E1_NS1_11comp_targetILNS1_3genE10ELNS1_11target_archE1200ELNS1_3gpuE4ELNS1_3repE0EEENS1_30default_config_static_selectorELNS0_4arch9wavefront6targetE1EEEvSF_
	.p2align	8
	.type	_ZN7rocprim17ROCPRIM_400000_NS6detail17trampoline_kernelINS0_14default_configENS1_22reduce_config_selectorIiEEZNS1_11reduce_implILb1ES3_PiS7_iN6thrust23THRUST_200600_302600_NS4plusIiEEEE10hipError_tPvRmT1_T2_T3_mT4_P12ihipStream_tbEUlT_E1_NS1_11comp_targetILNS1_3genE10ELNS1_11target_archE1200ELNS1_3gpuE4ELNS1_3repE0EEENS1_30default_config_static_selectorELNS0_4arch9wavefront6targetE1EEEvSF_,@function
_ZN7rocprim17ROCPRIM_400000_NS6detail17trampoline_kernelINS0_14default_configENS1_22reduce_config_selectorIiEEZNS1_11reduce_implILb1ES3_PiS7_iN6thrust23THRUST_200600_302600_NS4plusIiEEEE10hipError_tPvRmT1_T2_T3_mT4_P12ihipStream_tbEUlT_E1_NS1_11comp_targetILNS1_3genE10ELNS1_11target_archE1200ELNS1_3gpuE4ELNS1_3repE0EEENS1_30default_config_static_selectorELNS0_4arch9wavefront6targetE1EEEvSF_: ; @_ZN7rocprim17ROCPRIM_400000_NS6detail17trampoline_kernelINS0_14default_configENS1_22reduce_config_selectorIiEEZNS1_11reduce_implILb1ES3_PiS7_iN6thrust23THRUST_200600_302600_NS4plusIiEEEE10hipError_tPvRmT1_T2_T3_mT4_P12ihipStream_tbEUlT_E1_NS1_11comp_targetILNS1_3genE10ELNS1_11target_archE1200ELNS1_3gpuE4ELNS1_3repE0EEENS1_30default_config_static_selectorELNS0_4arch9wavefront6targetE1EEEvSF_
; %bb.0:
	.section	.rodata,"a",@progbits
	.p2align	6, 0x0
	.amdhsa_kernel _ZN7rocprim17ROCPRIM_400000_NS6detail17trampoline_kernelINS0_14default_configENS1_22reduce_config_selectorIiEEZNS1_11reduce_implILb1ES3_PiS7_iN6thrust23THRUST_200600_302600_NS4plusIiEEEE10hipError_tPvRmT1_T2_T3_mT4_P12ihipStream_tbEUlT_E1_NS1_11comp_targetILNS1_3genE10ELNS1_11target_archE1200ELNS1_3gpuE4ELNS1_3repE0EEENS1_30default_config_static_selectorELNS0_4arch9wavefront6targetE1EEEvSF_
		.amdhsa_group_segment_fixed_size 0
		.amdhsa_private_segment_fixed_size 0
		.amdhsa_kernarg_size 40
		.amdhsa_user_sgpr_count 6
		.amdhsa_user_sgpr_private_segment_buffer 1
		.amdhsa_user_sgpr_dispatch_ptr 0
		.amdhsa_user_sgpr_queue_ptr 0
		.amdhsa_user_sgpr_kernarg_segment_ptr 1
		.amdhsa_user_sgpr_dispatch_id 0
		.amdhsa_user_sgpr_flat_scratch_init 0
		.amdhsa_user_sgpr_kernarg_preload_length 0
		.amdhsa_user_sgpr_kernarg_preload_offset 0
		.amdhsa_user_sgpr_private_segment_size 0
		.amdhsa_uses_dynamic_stack 0
		.amdhsa_system_sgpr_private_segment_wavefront_offset 0
		.amdhsa_system_sgpr_workgroup_id_x 1
		.amdhsa_system_sgpr_workgroup_id_y 0
		.amdhsa_system_sgpr_workgroup_id_z 0
		.amdhsa_system_sgpr_workgroup_info 0
		.amdhsa_system_vgpr_workitem_id 0
		.amdhsa_next_free_vgpr 1
		.amdhsa_next_free_sgpr 0
		.amdhsa_accum_offset 4
		.amdhsa_reserve_vcc 0
		.amdhsa_reserve_flat_scratch 0
		.amdhsa_float_round_mode_32 0
		.amdhsa_float_round_mode_16_64 0
		.amdhsa_float_denorm_mode_32 3
		.amdhsa_float_denorm_mode_16_64 3
		.amdhsa_dx10_clamp 1
		.amdhsa_ieee_mode 1
		.amdhsa_fp16_overflow 0
		.amdhsa_tg_split 0
		.amdhsa_exception_fp_ieee_invalid_op 0
		.amdhsa_exception_fp_denorm_src 0
		.amdhsa_exception_fp_ieee_div_zero 0
		.amdhsa_exception_fp_ieee_overflow 0
		.amdhsa_exception_fp_ieee_underflow 0
		.amdhsa_exception_fp_ieee_inexact 0
		.amdhsa_exception_int_div_zero 0
	.end_amdhsa_kernel
	.section	.text._ZN7rocprim17ROCPRIM_400000_NS6detail17trampoline_kernelINS0_14default_configENS1_22reduce_config_selectorIiEEZNS1_11reduce_implILb1ES3_PiS7_iN6thrust23THRUST_200600_302600_NS4plusIiEEEE10hipError_tPvRmT1_T2_T3_mT4_P12ihipStream_tbEUlT_E1_NS1_11comp_targetILNS1_3genE10ELNS1_11target_archE1200ELNS1_3gpuE4ELNS1_3repE0EEENS1_30default_config_static_selectorELNS0_4arch9wavefront6targetE1EEEvSF_,"axG",@progbits,_ZN7rocprim17ROCPRIM_400000_NS6detail17trampoline_kernelINS0_14default_configENS1_22reduce_config_selectorIiEEZNS1_11reduce_implILb1ES3_PiS7_iN6thrust23THRUST_200600_302600_NS4plusIiEEEE10hipError_tPvRmT1_T2_T3_mT4_P12ihipStream_tbEUlT_E1_NS1_11comp_targetILNS1_3genE10ELNS1_11target_archE1200ELNS1_3gpuE4ELNS1_3repE0EEENS1_30default_config_static_selectorELNS0_4arch9wavefront6targetE1EEEvSF_,comdat
.Lfunc_end15:
	.size	_ZN7rocprim17ROCPRIM_400000_NS6detail17trampoline_kernelINS0_14default_configENS1_22reduce_config_selectorIiEEZNS1_11reduce_implILb1ES3_PiS7_iN6thrust23THRUST_200600_302600_NS4plusIiEEEE10hipError_tPvRmT1_T2_T3_mT4_P12ihipStream_tbEUlT_E1_NS1_11comp_targetILNS1_3genE10ELNS1_11target_archE1200ELNS1_3gpuE4ELNS1_3repE0EEENS1_30default_config_static_selectorELNS0_4arch9wavefront6targetE1EEEvSF_, .Lfunc_end15-_ZN7rocprim17ROCPRIM_400000_NS6detail17trampoline_kernelINS0_14default_configENS1_22reduce_config_selectorIiEEZNS1_11reduce_implILb1ES3_PiS7_iN6thrust23THRUST_200600_302600_NS4plusIiEEEE10hipError_tPvRmT1_T2_T3_mT4_P12ihipStream_tbEUlT_E1_NS1_11comp_targetILNS1_3genE10ELNS1_11target_archE1200ELNS1_3gpuE4ELNS1_3repE0EEENS1_30default_config_static_selectorELNS0_4arch9wavefront6targetE1EEEvSF_
                                        ; -- End function
	.section	.AMDGPU.csdata,"",@progbits
; Kernel info:
; codeLenInByte = 0
; NumSgprs: 4
; NumVgprs: 0
; NumAgprs: 0
; TotalNumVgprs: 0
; ScratchSize: 0
; MemoryBound: 0
; FloatMode: 240
; IeeeMode: 1
; LDSByteSize: 0 bytes/workgroup (compile time only)
; SGPRBlocks: 0
; VGPRBlocks: 0
; NumSGPRsForWavesPerEU: 4
; NumVGPRsForWavesPerEU: 1
; AccumOffset: 4
; Occupancy: 8
; WaveLimiterHint : 0
; COMPUTE_PGM_RSRC2:SCRATCH_EN: 0
; COMPUTE_PGM_RSRC2:USER_SGPR: 6
; COMPUTE_PGM_RSRC2:TRAP_HANDLER: 0
; COMPUTE_PGM_RSRC2:TGID_X_EN: 1
; COMPUTE_PGM_RSRC2:TGID_Y_EN: 0
; COMPUTE_PGM_RSRC2:TGID_Z_EN: 0
; COMPUTE_PGM_RSRC2:TIDIG_COMP_CNT: 0
; COMPUTE_PGM_RSRC3_GFX90A:ACCUM_OFFSET: 0
; COMPUTE_PGM_RSRC3_GFX90A:TG_SPLIT: 0
	.section	.text._ZN7rocprim17ROCPRIM_400000_NS6detail17trampoline_kernelINS0_14default_configENS1_22reduce_config_selectorIiEEZNS1_11reduce_implILb1ES3_PiS7_iN6thrust23THRUST_200600_302600_NS4plusIiEEEE10hipError_tPvRmT1_T2_T3_mT4_P12ihipStream_tbEUlT_E1_NS1_11comp_targetILNS1_3genE9ELNS1_11target_archE1100ELNS1_3gpuE3ELNS1_3repE0EEENS1_30default_config_static_selectorELNS0_4arch9wavefront6targetE1EEEvSF_,"axG",@progbits,_ZN7rocprim17ROCPRIM_400000_NS6detail17trampoline_kernelINS0_14default_configENS1_22reduce_config_selectorIiEEZNS1_11reduce_implILb1ES3_PiS7_iN6thrust23THRUST_200600_302600_NS4plusIiEEEE10hipError_tPvRmT1_T2_T3_mT4_P12ihipStream_tbEUlT_E1_NS1_11comp_targetILNS1_3genE9ELNS1_11target_archE1100ELNS1_3gpuE3ELNS1_3repE0EEENS1_30default_config_static_selectorELNS0_4arch9wavefront6targetE1EEEvSF_,comdat
	.protected	_ZN7rocprim17ROCPRIM_400000_NS6detail17trampoline_kernelINS0_14default_configENS1_22reduce_config_selectorIiEEZNS1_11reduce_implILb1ES3_PiS7_iN6thrust23THRUST_200600_302600_NS4plusIiEEEE10hipError_tPvRmT1_T2_T3_mT4_P12ihipStream_tbEUlT_E1_NS1_11comp_targetILNS1_3genE9ELNS1_11target_archE1100ELNS1_3gpuE3ELNS1_3repE0EEENS1_30default_config_static_selectorELNS0_4arch9wavefront6targetE1EEEvSF_ ; -- Begin function _ZN7rocprim17ROCPRIM_400000_NS6detail17trampoline_kernelINS0_14default_configENS1_22reduce_config_selectorIiEEZNS1_11reduce_implILb1ES3_PiS7_iN6thrust23THRUST_200600_302600_NS4plusIiEEEE10hipError_tPvRmT1_T2_T3_mT4_P12ihipStream_tbEUlT_E1_NS1_11comp_targetILNS1_3genE9ELNS1_11target_archE1100ELNS1_3gpuE3ELNS1_3repE0EEENS1_30default_config_static_selectorELNS0_4arch9wavefront6targetE1EEEvSF_
	.globl	_ZN7rocprim17ROCPRIM_400000_NS6detail17trampoline_kernelINS0_14default_configENS1_22reduce_config_selectorIiEEZNS1_11reduce_implILb1ES3_PiS7_iN6thrust23THRUST_200600_302600_NS4plusIiEEEE10hipError_tPvRmT1_T2_T3_mT4_P12ihipStream_tbEUlT_E1_NS1_11comp_targetILNS1_3genE9ELNS1_11target_archE1100ELNS1_3gpuE3ELNS1_3repE0EEENS1_30default_config_static_selectorELNS0_4arch9wavefront6targetE1EEEvSF_
	.p2align	8
	.type	_ZN7rocprim17ROCPRIM_400000_NS6detail17trampoline_kernelINS0_14default_configENS1_22reduce_config_selectorIiEEZNS1_11reduce_implILb1ES3_PiS7_iN6thrust23THRUST_200600_302600_NS4plusIiEEEE10hipError_tPvRmT1_T2_T3_mT4_P12ihipStream_tbEUlT_E1_NS1_11comp_targetILNS1_3genE9ELNS1_11target_archE1100ELNS1_3gpuE3ELNS1_3repE0EEENS1_30default_config_static_selectorELNS0_4arch9wavefront6targetE1EEEvSF_,@function
_ZN7rocprim17ROCPRIM_400000_NS6detail17trampoline_kernelINS0_14default_configENS1_22reduce_config_selectorIiEEZNS1_11reduce_implILb1ES3_PiS7_iN6thrust23THRUST_200600_302600_NS4plusIiEEEE10hipError_tPvRmT1_T2_T3_mT4_P12ihipStream_tbEUlT_E1_NS1_11comp_targetILNS1_3genE9ELNS1_11target_archE1100ELNS1_3gpuE3ELNS1_3repE0EEENS1_30default_config_static_selectorELNS0_4arch9wavefront6targetE1EEEvSF_: ; @_ZN7rocprim17ROCPRIM_400000_NS6detail17trampoline_kernelINS0_14default_configENS1_22reduce_config_selectorIiEEZNS1_11reduce_implILb1ES3_PiS7_iN6thrust23THRUST_200600_302600_NS4plusIiEEEE10hipError_tPvRmT1_T2_T3_mT4_P12ihipStream_tbEUlT_E1_NS1_11comp_targetILNS1_3genE9ELNS1_11target_archE1100ELNS1_3gpuE3ELNS1_3repE0EEENS1_30default_config_static_selectorELNS0_4arch9wavefront6targetE1EEEvSF_
; %bb.0:
	.section	.rodata,"a",@progbits
	.p2align	6, 0x0
	.amdhsa_kernel _ZN7rocprim17ROCPRIM_400000_NS6detail17trampoline_kernelINS0_14default_configENS1_22reduce_config_selectorIiEEZNS1_11reduce_implILb1ES3_PiS7_iN6thrust23THRUST_200600_302600_NS4plusIiEEEE10hipError_tPvRmT1_T2_T3_mT4_P12ihipStream_tbEUlT_E1_NS1_11comp_targetILNS1_3genE9ELNS1_11target_archE1100ELNS1_3gpuE3ELNS1_3repE0EEENS1_30default_config_static_selectorELNS0_4arch9wavefront6targetE1EEEvSF_
		.amdhsa_group_segment_fixed_size 0
		.amdhsa_private_segment_fixed_size 0
		.amdhsa_kernarg_size 40
		.amdhsa_user_sgpr_count 6
		.amdhsa_user_sgpr_private_segment_buffer 1
		.amdhsa_user_sgpr_dispatch_ptr 0
		.amdhsa_user_sgpr_queue_ptr 0
		.amdhsa_user_sgpr_kernarg_segment_ptr 1
		.amdhsa_user_sgpr_dispatch_id 0
		.amdhsa_user_sgpr_flat_scratch_init 0
		.amdhsa_user_sgpr_kernarg_preload_length 0
		.amdhsa_user_sgpr_kernarg_preload_offset 0
		.amdhsa_user_sgpr_private_segment_size 0
		.amdhsa_uses_dynamic_stack 0
		.amdhsa_system_sgpr_private_segment_wavefront_offset 0
		.amdhsa_system_sgpr_workgroup_id_x 1
		.amdhsa_system_sgpr_workgroup_id_y 0
		.amdhsa_system_sgpr_workgroup_id_z 0
		.amdhsa_system_sgpr_workgroup_info 0
		.amdhsa_system_vgpr_workitem_id 0
		.amdhsa_next_free_vgpr 1
		.amdhsa_next_free_sgpr 0
		.amdhsa_accum_offset 4
		.amdhsa_reserve_vcc 0
		.amdhsa_reserve_flat_scratch 0
		.amdhsa_float_round_mode_32 0
		.amdhsa_float_round_mode_16_64 0
		.amdhsa_float_denorm_mode_32 3
		.amdhsa_float_denorm_mode_16_64 3
		.amdhsa_dx10_clamp 1
		.amdhsa_ieee_mode 1
		.amdhsa_fp16_overflow 0
		.amdhsa_tg_split 0
		.amdhsa_exception_fp_ieee_invalid_op 0
		.amdhsa_exception_fp_denorm_src 0
		.amdhsa_exception_fp_ieee_div_zero 0
		.amdhsa_exception_fp_ieee_overflow 0
		.amdhsa_exception_fp_ieee_underflow 0
		.amdhsa_exception_fp_ieee_inexact 0
		.amdhsa_exception_int_div_zero 0
	.end_amdhsa_kernel
	.section	.text._ZN7rocprim17ROCPRIM_400000_NS6detail17trampoline_kernelINS0_14default_configENS1_22reduce_config_selectorIiEEZNS1_11reduce_implILb1ES3_PiS7_iN6thrust23THRUST_200600_302600_NS4plusIiEEEE10hipError_tPvRmT1_T2_T3_mT4_P12ihipStream_tbEUlT_E1_NS1_11comp_targetILNS1_3genE9ELNS1_11target_archE1100ELNS1_3gpuE3ELNS1_3repE0EEENS1_30default_config_static_selectorELNS0_4arch9wavefront6targetE1EEEvSF_,"axG",@progbits,_ZN7rocprim17ROCPRIM_400000_NS6detail17trampoline_kernelINS0_14default_configENS1_22reduce_config_selectorIiEEZNS1_11reduce_implILb1ES3_PiS7_iN6thrust23THRUST_200600_302600_NS4plusIiEEEE10hipError_tPvRmT1_T2_T3_mT4_P12ihipStream_tbEUlT_E1_NS1_11comp_targetILNS1_3genE9ELNS1_11target_archE1100ELNS1_3gpuE3ELNS1_3repE0EEENS1_30default_config_static_selectorELNS0_4arch9wavefront6targetE1EEEvSF_,comdat
.Lfunc_end16:
	.size	_ZN7rocprim17ROCPRIM_400000_NS6detail17trampoline_kernelINS0_14default_configENS1_22reduce_config_selectorIiEEZNS1_11reduce_implILb1ES3_PiS7_iN6thrust23THRUST_200600_302600_NS4plusIiEEEE10hipError_tPvRmT1_T2_T3_mT4_P12ihipStream_tbEUlT_E1_NS1_11comp_targetILNS1_3genE9ELNS1_11target_archE1100ELNS1_3gpuE3ELNS1_3repE0EEENS1_30default_config_static_selectorELNS0_4arch9wavefront6targetE1EEEvSF_, .Lfunc_end16-_ZN7rocprim17ROCPRIM_400000_NS6detail17trampoline_kernelINS0_14default_configENS1_22reduce_config_selectorIiEEZNS1_11reduce_implILb1ES3_PiS7_iN6thrust23THRUST_200600_302600_NS4plusIiEEEE10hipError_tPvRmT1_T2_T3_mT4_P12ihipStream_tbEUlT_E1_NS1_11comp_targetILNS1_3genE9ELNS1_11target_archE1100ELNS1_3gpuE3ELNS1_3repE0EEENS1_30default_config_static_selectorELNS0_4arch9wavefront6targetE1EEEvSF_
                                        ; -- End function
	.section	.AMDGPU.csdata,"",@progbits
; Kernel info:
; codeLenInByte = 0
; NumSgprs: 4
; NumVgprs: 0
; NumAgprs: 0
; TotalNumVgprs: 0
; ScratchSize: 0
; MemoryBound: 0
; FloatMode: 240
; IeeeMode: 1
; LDSByteSize: 0 bytes/workgroup (compile time only)
; SGPRBlocks: 0
; VGPRBlocks: 0
; NumSGPRsForWavesPerEU: 4
; NumVGPRsForWavesPerEU: 1
; AccumOffset: 4
; Occupancy: 8
; WaveLimiterHint : 0
; COMPUTE_PGM_RSRC2:SCRATCH_EN: 0
; COMPUTE_PGM_RSRC2:USER_SGPR: 6
; COMPUTE_PGM_RSRC2:TRAP_HANDLER: 0
; COMPUTE_PGM_RSRC2:TGID_X_EN: 1
; COMPUTE_PGM_RSRC2:TGID_Y_EN: 0
; COMPUTE_PGM_RSRC2:TGID_Z_EN: 0
; COMPUTE_PGM_RSRC2:TIDIG_COMP_CNT: 0
; COMPUTE_PGM_RSRC3_GFX90A:ACCUM_OFFSET: 0
; COMPUTE_PGM_RSRC3_GFX90A:TG_SPLIT: 0
	.section	.text._ZN7rocprim17ROCPRIM_400000_NS6detail17trampoline_kernelINS0_14default_configENS1_22reduce_config_selectorIiEEZNS1_11reduce_implILb1ES3_PiS7_iN6thrust23THRUST_200600_302600_NS4plusIiEEEE10hipError_tPvRmT1_T2_T3_mT4_P12ihipStream_tbEUlT_E1_NS1_11comp_targetILNS1_3genE8ELNS1_11target_archE1030ELNS1_3gpuE2ELNS1_3repE0EEENS1_30default_config_static_selectorELNS0_4arch9wavefront6targetE1EEEvSF_,"axG",@progbits,_ZN7rocprim17ROCPRIM_400000_NS6detail17trampoline_kernelINS0_14default_configENS1_22reduce_config_selectorIiEEZNS1_11reduce_implILb1ES3_PiS7_iN6thrust23THRUST_200600_302600_NS4plusIiEEEE10hipError_tPvRmT1_T2_T3_mT4_P12ihipStream_tbEUlT_E1_NS1_11comp_targetILNS1_3genE8ELNS1_11target_archE1030ELNS1_3gpuE2ELNS1_3repE0EEENS1_30default_config_static_selectorELNS0_4arch9wavefront6targetE1EEEvSF_,comdat
	.protected	_ZN7rocprim17ROCPRIM_400000_NS6detail17trampoline_kernelINS0_14default_configENS1_22reduce_config_selectorIiEEZNS1_11reduce_implILb1ES3_PiS7_iN6thrust23THRUST_200600_302600_NS4plusIiEEEE10hipError_tPvRmT1_T2_T3_mT4_P12ihipStream_tbEUlT_E1_NS1_11comp_targetILNS1_3genE8ELNS1_11target_archE1030ELNS1_3gpuE2ELNS1_3repE0EEENS1_30default_config_static_selectorELNS0_4arch9wavefront6targetE1EEEvSF_ ; -- Begin function _ZN7rocprim17ROCPRIM_400000_NS6detail17trampoline_kernelINS0_14default_configENS1_22reduce_config_selectorIiEEZNS1_11reduce_implILb1ES3_PiS7_iN6thrust23THRUST_200600_302600_NS4plusIiEEEE10hipError_tPvRmT1_T2_T3_mT4_P12ihipStream_tbEUlT_E1_NS1_11comp_targetILNS1_3genE8ELNS1_11target_archE1030ELNS1_3gpuE2ELNS1_3repE0EEENS1_30default_config_static_selectorELNS0_4arch9wavefront6targetE1EEEvSF_
	.globl	_ZN7rocprim17ROCPRIM_400000_NS6detail17trampoline_kernelINS0_14default_configENS1_22reduce_config_selectorIiEEZNS1_11reduce_implILb1ES3_PiS7_iN6thrust23THRUST_200600_302600_NS4plusIiEEEE10hipError_tPvRmT1_T2_T3_mT4_P12ihipStream_tbEUlT_E1_NS1_11comp_targetILNS1_3genE8ELNS1_11target_archE1030ELNS1_3gpuE2ELNS1_3repE0EEENS1_30default_config_static_selectorELNS0_4arch9wavefront6targetE1EEEvSF_
	.p2align	8
	.type	_ZN7rocprim17ROCPRIM_400000_NS6detail17trampoline_kernelINS0_14default_configENS1_22reduce_config_selectorIiEEZNS1_11reduce_implILb1ES3_PiS7_iN6thrust23THRUST_200600_302600_NS4plusIiEEEE10hipError_tPvRmT1_T2_T3_mT4_P12ihipStream_tbEUlT_E1_NS1_11comp_targetILNS1_3genE8ELNS1_11target_archE1030ELNS1_3gpuE2ELNS1_3repE0EEENS1_30default_config_static_selectorELNS0_4arch9wavefront6targetE1EEEvSF_,@function
_ZN7rocprim17ROCPRIM_400000_NS6detail17trampoline_kernelINS0_14default_configENS1_22reduce_config_selectorIiEEZNS1_11reduce_implILb1ES3_PiS7_iN6thrust23THRUST_200600_302600_NS4plusIiEEEE10hipError_tPvRmT1_T2_T3_mT4_P12ihipStream_tbEUlT_E1_NS1_11comp_targetILNS1_3genE8ELNS1_11target_archE1030ELNS1_3gpuE2ELNS1_3repE0EEENS1_30default_config_static_selectorELNS0_4arch9wavefront6targetE1EEEvSF_: ; @_ZN7rocprim17ROCPRIM_400000_NS6detail17trampoline_kernelINS0_14default_configENS1_22reduce_config_selectorIiEEZNS1_11reduce_implILb1ES3_PiS7_iN6thrust23THRUST_200600_302600_NS4plusIiEEEE10hipError_tPvRmT1_T2_T3_mT4_P12ihipStream_tbEUlT_E1_NS1_11comp_targetILNS1_3genE8ELNS1_11target_archE1030ELNS1_3gpuE2ELNS1_3repE0EEENS1_30default_config_static_selectorELNS0_4arch9wavefront6targetE1EEEvSF_
; %bb.0:
	.section	.rodata,"a",@progbits
	.p2align	6, 0x0
	.amdhsa_kernel _ZN7rocprim17ROCPRIM_400000_NS6detail17trampoline_kernelINS0_14default_configENS1_22reduce_config_selectorIiEEZNS1_11reduce_implILb1ES3_PiS7_iN6thrust23THRUST_200600_302600_NS4plusIiEEEE10hipError_tPvRmT1_T2_T3_mT4_P12ihipStream_tbEUlT_E1_NS1_11comp_targetILNS1_3genE8ELNS1_11target_archE1030ELNS1_3gpuE2ELNS1_3repE0EEENS1_30default_config_static_selectorELNS0_4arch9wavefront6targetE1EEEvSF_
		.amdhsa_group_segment_fixed_size 0
		.amdhsa_private_segment_fixed_size 0
		.amdhsa_kernarg_size 40
		.amdhsa_user_sgpr_count 6
		.amdhsa_user_sgpr_private_segment_buffer 1
		.amdhsa_user_sgpr_dispatch_ptr 0
		.amdhsa_user_sgpr_queue_ptr 0
		.amdhsa_user_sgpr_kernarg_segment_ptr 1
		.amdhsa_user_sgpr_dispatch_id 0
		.amdhsa_user_sgpr_flat_scratch_init 0
		.amdhsa_user_sgpr_kernarg_preload_length 0
		.amdhsa_user_sgpr_kernarg_preload_offset 0
		.amdhsa_user_sgpr_private_segment_size 0
		.amdhsa_uses_dynamic_stack 0
		.amdhsa_system_sgpr_private_segment_wavefront_offset 0
		.amdhsa_system_sgpr_workgroup_id_x 1
		.amdhsa_system_sgpr_workgroup_id_y 0
		.amdhsa_system_sgpr_workgroup_id_z 0
		.amdhsa_system_sgpr_workgroup_info 0
		.amdhsa_system_vgpr_workitem_id 0
		.amdhsa_next_free_vgpr 1
		.amdhsa_next_free_sgpr 0
		.amdhsa_accum_offset 4
		.amdhsa_reserve_vcc 0
		.amdhsa_reserve_flat_scratch 0
		.amdhsa_float_round_mode_32 0
		.amdhsa_float_round_mode_16_64 0
		.amdhsa_float_denorm_mode_32 3
		.amdhsa_float_denorm_mode_16_64 3
		.amdhsa_dx10_clamp 1
		.amdhsa_ieee_mode 1
		.amdhsa_fp16_overflow 0
		.amdhsa_tg_split 0
		.amdhsa_exception_fp_ieee_invalid_op 0
		.amdhsa_exception_fp_denorm_src 0
		.amdhsa_exception_fp_ieee_div_zero 0
		.amdhsa_exception_fp_ieee_overflow 0
		.amdhsa_exception_fp_ieee_underflow 0
		.amdhsa_exception_fp_ieee_inexact 0
		.amdhsa_exception_int_div_zero 0
	.end_amdhsa_kernel
	.section	.text._ZN7rocprim17ROCPRIM_400000_NS6detail17trampoline_kernelINS0_14default_configENS1_22reduce_config_selectorIiEEZNS1_11reduce_implILb1ES3_PiS7_iN6thrust23THRUST_200600_302600_NS4plusIiEEEE10hipError_tPvRmT1_T2_T3_mT4_P12ihipStream_tbEUlT_E1_NS1_11comp_targetILNS1_3genE8ELNS1_11target_archE1030ELNS1_3gpuE2ELNS1_3repE0EEENS1_30default_config_static_selectorELNS0_4arch9wavefront6targetE1EEEvSF_,"axG",@progbits,_ZN7rocprim17ROCPRIM_400000_NS6detail17trampoline_kernelINS0_14default_configENS1_22reduce_config_selectorIiEEZNS1_11reduce_implILb1ES3_PiS7_iN6thrust23THRUST_200600_302600_NS4plusIiEEEE10hipError_tPvRmT1_T2_T3_mT4_P12ihipStream_tbEUlT_E1_NS1_11comp_targetILNS1_3genE8ELNS1_11target_archE1030ELNS1_3gpuE2ELNS1_3repE0EEENS1_30default_config_static_selectorELNS0_4arch9wavefront6targetE1EEEvSF_,comdat
.Lfunc_end17:
	.size	_ZN7rocprim17ROCPRIM_400000_NS6detail17trampoline_kernelINS0_14default_configENS1_22reduce_config_selectorIiEEZNS1_11reduce_implILb1ES3_PiS7_iN6thrust23THRUST_200600_302600_NS4plusIiEEEE10hipError_tPvRmT1_T2_T3_mT4_P12ihipStream_tbEUlT_E1_NS1_11comp_targetILNS1_3genE8ELNS1_11target_archE1030ELNS1_3gpuE2ELNS1_3repE0EEENS1_30default_config_static_selectorELNS0_4arch9wavefront6targetE1EEEvSF_, .Lfunc_end17-_ZN7rocprim17ROCPRIM_400000_NS6detail17trampoline_kernelINS0_14default_configENS1_22reduce_config_selectorIiEEZNS1_11reduce_implILb1ES3_PiS7_iN6thrust23THRUST_200600_302600_NS4plusIiEEEE10hipError_tPvRmT1_T2_T3_mT4_P12ihipStream_tbEUlT_E1_NS1_11comp_targetILNS1_3genE8ELNS1_11target_archE1030ELNS1_3gpuE2ELNS1_3repE0EEENS1_30default_config_static_selectorELNS0_4arch9wavefront6targetE1EEEvSF_
                                        ; -- End function
	.section	.AMDGPU.csdata,"",@progbits
; Kernel info:
; codeLenInByte = 0
; NumSgprs: 4
; NumVgprs: 0
; NumAgprs: 0
; TotalNumVgprs: 0
; ScratchSize: 0
; MemoryBound: 0
; FloatMode: 240
; IeeeMode: 1
; LDSByteSize: 0 bytes/workgroup (compile time only)
; SGPRBlocks: 0
; VGPRBlocks: 0
; NumSGPRsForWavesPerEU: 4
; NumVGPRsForWavesPerEU: 1
; AccumOffset: 4
; Occupancy: 8
; WaveLimiterHint : 0
; COMPUTE_PGM_RSRC2:SCRATCH_EN: 0
; COMPUTE_PGM_RSRC2:USER_SGPR: 6
; COMPUTE_PGM_RSRC2:TRAP_HANDLER: 0
; COMPUTE_PGM_RSRC2:TGID_X_EN: 1
; COMPUTE_PGM_RSRC2:TGID_Y_EN: 0
; COMPUTE_PGM_RSRC2:TGID_Z_EN: 0
; COMPUTE_PGM_RSRC2:TIDIG_COMP_CNT: 0
; COMPUTE_PGM_RSRC3_GFX90A:ACCUM_OFFSET: 0
; COMPUTE_PGM_RSRC3_GFX90A:TG_SPLIT: 0
	.section	.text._ZN7rocprim17ROCPRIM_400000_NS6detail17trampoline_kernelINS0_14default_configENS1_22reduce_config_selectorIiEEZNS1_11reduce_implILb1ES3_N6thrust23THRUST_200600_302600_NS11hip_rocprim35transform_pair_of_input_iterators_tIiNS8_6detail15normal_iteratorINS8_10device_ptrIKcEEEESG_13is_word_startEEPiiNS8_4plusIiEEEE10hipError_tPvRmT1_T2_T3_mT4_P12ihipStream_tbEUlT_E0_NS1_11comp_targetILNS1_3genE0ELNS1_11target_archE4294967295ELNS1_3gpuE0ELNS1_3repE0EEENS1_30default_config_static_selectorELNS0_4arch9wavefront6targetE1EEEvSP_,"axG",@progbits,_ZN7rocprim17ROCPRIM_400000_NS6detail17trampoline_kernelINS0_14default_configENS1_22reduce_config_selectorIiEEZNS1_11reduce_implILb1ES3_N6thrust23THRUST_200600_302600_NS11hip_rocprim35transform_pair_of_input_iterators_tIiNS8_6detail15normal_iteratorINS8_10device_ptrIKcEEEESG_13is_word_startEEPiiNS8_4plusIiEEEE10hipError_tPvRmT1_T2_T3_mT4_P12ihipStream_tbEUlT_E0_NS1_11comp_targetILNS1_3genE0ELNS1_11target_archE4294967295ELNS1_3gpuE0ELNS1_3repE0EEENS1_30default_config_static_selectorELNS0_4arch9wavefront6targetE1EEEvSP_,comdat
	.protected	_ZN7rocprim17ROCPRIM_400000_NS6detail17trampoline_kernelINS0_14default_configENS1_22reduce_config_selectorIiEEZNS1_11reduce_implILb1ES3_N6thrust23THRUST_200600_302600_NS11hip_rocprim35transform_pair_of_input_iterators_tIiNS8_6detail15normal_iteratorINS8_10device_ptrIKcEEEESG_13is_word_startEEPiiNS8_4plusIiEEEE10hipError_tPvRmT1_T2_T3_mT4_P12ihipStream_tbEUlT_E0_NS1_11comp_targetILNS1_3genE0ELNS1_11target_archE4294967295ELNS1_3gpuE0ELNS1_3repE0EEENS1_30default_config_static_selectorELNS0_4arch9wavefront6targetE1EEEvSP_ ; -- Begin function _ZN7rocprim17ROCPRIM_400000_NS6detail17trampoline_kernelINS0_14default_configENS1_22reduce_config_selectorIiEEZNS1_11reduce_implILb1ES3_N6thrust23THRUST_200600_302600_NS11hip_rocprim35transform_pair_of_input_iterators_tIiNS8_6detail15normal_iteratorINS8_10device_ptrIKcEEEESG_13is_word_startEEPiiNS8_4plusIiEEEE10hipError_tPvRmT1_T2_T3_mT4_P12ihipStream_tbEUlT_E0_NS1_11comp_targetILNS1_3genE0ELNS1_11target_archE4294967295ELNS1_3gpuE0ELNS1_3repE0EEENS1_30default_config_static_selectorELNS0_4arch9wavefront6targetE1EEEvSP_
	.globl	_ZN7rocprim17ROCPRIM_400000_NS6detail17trampoline_kernelINS0_14default_configENS1_22reduce_config_selectorIiEEZNS1_11reduce_implILb1ES3_N6thrust23THRUST_200600_302600_NS11hip_rocprim35transform_pair_of_input_iterators_tIiNS8_6detail15normal_iteratorINS8_10device_ptrIKcEEEESG_13is_word_startEEPiiNS8_4plusIiEEEE10hipError_tPvRmT1_T2_T3_mT4_P12ihipStream_tbEUlT_E0_NS1_11comp_targetILNS1_3genE0ELNS1_11target_archE4294967295ELNS1_3gpuE0ELNS1_3repE0EEENS1_30default_config_static_selectorELNS0_4arch9wavefront6targetE1EEEvSP_
	.p2align	8
	.type	_ZN7rocprim17ROCPRIM_400000_NS6detail17trampoline_kernelINS0_14default_configENS1_22reduce_config_selectorIiEEZNS1_11reduce_implILb1ES3_N6thrust23THRUST_200600_302600_NS11hip_rocprim35transform_pair_of_input_iterators_tIiNS8_6detail15normal_iteratorINS8_10device_ptrIKcEEEESG_13is_word_startEEPiiNS8_4plusIiEEEE10hipError_tPvRmT1_T2_T3_mT4_P12ihipStream_tbEUlT_E0_NS1_11comp_targetILNS1_3genE0ELNS1_11target_archE4294967295ELNS1_3gpuE0ELNS1_3repE0EEENS1_30default_config_static_selectorELNS0_4arch9wavefront6targetE1EEEvSP_,@function
_ZN7rocprim17ROCPRIM_400000_NS6detail17trampoline_kernelINS0_14default_configENS1_22reduce_config_selectorIiEEZNS1_11reduce_implILb1ES3_N6thrust23THRUST_200600_302600_NS11hip_rocprim35transform_pair_of_input_iterators_tIiNS8_6detail15normal_iteratorINS8_10device_ptrIKcEEEESG_13is_word_startEEPiiNS8_4plusIiEEEE10hipError_tPvRmT1_T2_T3_mT4_P12ihipStream_tbEUlT_E0_NS1_11comp_targetILNS1_3genE0ELNS1_11target_archE4294967295ELNS1_3gpuE0ELNS1_3repE0EEENS1_30default_config_static_selectorELNS0_4arch9wavefront6targetE1EEEvSP_: ; @_ZN7rocprim17ROCPRIM_400000_NS6detail17trampoline_kernelINS0_14default_configENS1_22reduce_config_selectorIiEEZNS1_11reduce_implILb1ES3_N6thrust23THRUST_200600_302600_NS11hip_rocprim35transform_pair_of_input_iterators_tIiNS8_6detail15normal_iteratorINS8_10device_ptrIKcEEEESG_13is_word_startEEPiiNS8_4plusIiEEEE10hipError_tPvRmT1_T2_T3_mT4_P12ihipStream_tbEUlT_E0_NS1_11comp_targetILNS1_3genE0ELNS1_11target_archE4294967295ELNS1_3gpuE0ELNS1_3repE0EEENS1_30default_config_static_selectorELNS0_4arch9wavefront6targetE1EEEvSP_
; %bb.0:
	.section	.rodata,"a",@progbits
	.p2align	6, 0x0
	.amdhsa_kernel _ZN7rocprim17ROCPRIM_400000_NS6detail17trampoline_kernelINS0_14default_configENS1_22reduce_config_selectorIiEEZNS1_11reduce_implILb1ES3_N6thrust23THRUST_200600_302600_NS11hip_rocprim35transform_pair_of_input_iterators_tIiNS8_6detail15normal_iteratorINS8_10device_ptrIKcEEEESG_13is_word_startEEPiiNS8_4plusIiEEEE10hipError_tPvRmT1_T2_T3_mT4_P12ihipStream_tbEUlT_E0_NS1_11comp_targetILNS1_3genE0ELNS1_11target_archE4294967295ELNS1_3gpuE0ELNS1_3repE0EEENS1_30default_config_static_selectorELNS0_4arch9wavefront6targetE1EEEvSP_
		.amdhsa_group_segment_fixed_size 0
		.amdhsa_private_segment_fixed_size 0
		.amdhsa_kernarg_size 72
		.amdhsa_user_sgpr_count 6
		.amdhsa_user_sgpr_private_segment_buffer 1
		.amdhsa_user_sgpr_dispatch_ptr 0
		.amdhsa_user_sgpr_queue_ptr 0
		.amdhsa_user_sgpr_kernarg_segment_ptr 1
		.amdhsa_user_sgpr_dispatch_id 0
		.amdhsa_user_sgpr_flat_scratch_init 0
		.amdhsa_user_sgpr_kernarg_preload_length 0
		.amdhsa_user_sgpr_kernarg_preload_offset 0
		.amdhsa_user_sgpr_private_segment_size 0
		.amdhsa_uses_dynamic_stack 0
		.amdhsa_system_sgpr_private_segment_wavefront_offset 0
		.amdhsa_system_sgpr_workgroup_id_x 1
		.amdhsa_system_sgpr_workgroup_id_y 0
		.amdhsa_system_sgpr_workgroup_id_z 0
		.amdhsa_system_sgpr_workgroup_info 0
		.amdhsa_system_vgpr_workitem_id 0
		.amdhsa_next_free_vgpr 1
		.amdhsa_next_free_sgpr 0
		.amdhsa_accum_offset 4
		.amdhsa_reserve_vcc 0
		.amdhsa_reserve_flat_scratch 0
		.amdhsa_float_round_mode_32 0
		.amdhsa_float_round_mode_16_64 0
		.amdhsa_float_denorm_mode_32 3
		.amdhsa_float_denorm_mode_16_64 3
		.amdhsa_dx10_clamp 1
		.amdhsa_ieee_mode 1
		.amdhsa_fp16_overflow 0
		.amdhsa_tg_split 0
		.amdhsa_exception_fp_ieee_invalid_op 0
		.amdhsa_exception_fp_denorm_src 0
		.amdhsa_exception_fp_ieee_div_zero 0
		.amdhsa_exception_fp_ieee_overflow 0
		.amdhsa_exception_fp_ieee_underflow 0
		.amdhsa_exception_fp_ieee_inexact 0
		.amdhsa_exception_int_div_zero 0
	.end_amdhsa_kernel
	.section	.text._ZN7rocprim17ROCPRIM_400000_NS6detail17trampoline_kernelINS0_14default_configENS1_22reduce_config_selectorIiEEZNS1_11reduce_implILb1ES3_N6thrust23THRUST_200600_302600_NS11hip_rocprim35transform_pair_of_input_iterators_tIiNS8_6detail15normal_iteratorINS8_10device_ptrIKcEEEESG_13is_word_startEEPiiNS8_4plusIiEEEE10hipError_tPvRmT1_T2_T3_mT4_P12ihipStream_tbEUlT_E0_NS1_11comp_targetILNS1_3genE0ELNS1_11target_archE4294967295ELNS1_3gpuE0ELNS1_3repE0EEENS1_30default_config_static_selectorELNS0_4arch9wavefront6targetE1EEEvSP_,"axG",@progbits,_ZN7rocprim17ROCPRIM_400000_NS6detail17trampoline_kernelINS0_14default_configENS1_22reduce_config_selectorIiEEZNS1_11reduce_implILb1ES3_N6thrust23THRUST_200600_302600_NS11hip_rocprim35transform_pair_of_input_iterators_tIiNS8_6detail15normal_iteratorINS8_10device_ptrIKcEEEESG_13is_word_startEEPiiNS8_4plusIiEEEE10hipError_tPvRmT1_T2_T3_mT4_P12ihipStream_tbEUlT_E0_NS1_11comp_targetILNS1_3genE0ELNS1_11target_archE4294967295ELNS1_3gpuE0ELNS1_3repE0EEENS1_30default_config_static_selectorELNS0_4arch9wavefront6targetE1EEEvSP_,comdat
.Lfunc_end18:
	.size	_ZN7rocprim17ROCPRIM_400000_NS6detail17trampoline_kernelINS0_14default_configENS1_22reduce_config_selectorIiEEZNS1_11reduce_implILb1ES3_N6thrust23THRUST_200600_302600_NS11hip_rocprim35transform_pair_of_input_iterators_tIiNS8_6detail15normal_iteratorINS8_10device_ptrIKcEEEESG_13is_word_startEEPiiNS8_4plusIiEEEE10hipError_tPvRmT1_T2_T3_mT4_P12ihipStream_tbEUlT_E0_NS1_11comp_targetILNS1_3genE0ELNS1_11target_archE4294967295ELNS1_3gpuE0ELNS1_3repE0EEENS1_30default_config_static_selectorELNS0_4arch9wavefront6targetE1EEEvSP_, .Lfunc_end18-_ZN7rocprim17ROCPRIM_400000_NS6detail17trampoline_kernelINS0_14default_configENS1_22reduce_config_selectorIiEEZNS1_11reduce_implILb1ES3_N6thrust23THRUST_200600_302600_NS11hip_rocprim35transform_pair_of_input_iterators_tIiNS8_6detail15normal_iteratorINS8_10device_ptrIKcEEEESG_13is_word_startEEPiiNS8_4plusIiEEEE10hipError_tPvRmT1_T2_T3_mT4_P12ihipStream_tbEUlT_E0_NS1_11comp_targetILNS1_3genE0ELNS1_11target_archE4294967295ELNS1_3gpuE0ELNS1_3repE0EEENS1_30default_config_static_selectorELNS0_4arch9wavefront6targetE1EEEvSP_
                                        ; -- End function
	.section	.AMDGPU.csdata,"",@progbits
; Kernel info:
; codeLenInByte = 0
; NumSgprs: 4
; NumVgprs: 0
; NumAgprs: 0
; TotalNumVgprs: 0
; ScratchSize: 0
; MemoryBound: 0
; FloatMode: 240
; IeeeMode: 1
; LDSByteSize: 0 bytes/workgroup (compile time only)
; SGPRBlocks: 0
; VGPRBlocks: 0
; NumSGPRsForWavesPerEU: 4
; NumVGPRsForWavesPerEU: 1
; AccumOffset: 4
; Occupancy: 8
; WaveLimiterHint : 0
; COMPUTE_PGM_RSRC2:SCRATCH_EN: 0
; COMPUTE_PGM_RSRC2:USER_SGPR: 6
; COMPUTE_PGM_RSRC2:TRAP_HANDLER: 0
; COMPUTE_PGM_RSRC2:TGID_X_EN: 1
; COMPUTE_PGM_RSRC2:TGID_Y_EN: 0
; COMPUTE_PGM_RSRC2:TGID_Z_EN: 0
; COMPUTE_PGM_RSRC2:TIDIG_COMP_CNT: 0
; COMPUTE_PGM_RSRC3_GFX90A:ACCUM_OFFSET: 0
; COMPUTE_PGM_RSRC3_GFX90A:TG_SPLIT: 0
	.section	.text._ZN7rocprim17ROCPRIM_400000_NS6detail17trampoline_kernelINS0_14default_configENS1_22reduce_config_selectorIiEEZNS1_11reduce_implILb1ES3_N6thrust23THRUST_200600_302600_NS11hip_rocprim35transform_pair_of_input_iterators_tIiNS8_6detail15normal_iteratorINS8_10device_ptrIKcEEEESG_13is_word_startEEPiiNS8_4plusIiEEEE10hipError_tPvRmT1_T2_T3_mT4_P12ihipStream_tbEUlT_E0_NS1_11comp_targetILNS1_3genE5ELNS1_11target_archE942ELNS1_3gpuE9ELNS1_3repE0EEENS1_30default_config_static_selectorELNS0_4arch9wavefront6targetE1EEEvSP_,"axG",@progbits,_ZN7rocprim17ROCPRIM_400000_NS6detail17trampoline_kernelINS0_14default_configENS1_22reduce_config_selectorIiEEZNS1_11reduce_implILb1ES3_N6thrust23THRUST_200600_302600_NS11hip_rocprim35transform_pair_of_input_iterators_tIiNS8_6detail15normal_iteratorINS8_10device_ptrIKcEEEESG_13is_word_startEEPiiNS8_4plusIiEEEE10hipError_tPvRmT1_T2_T3_mT4_P12ihipStream_tbEUlT_E0_NS1_11comp_targetILNS1_3genE5ELNS1_11target_archE942ELNS1_3gpuE9ELNS1_3repE0EEENS1_30default_config_static_selectorELNS0_4arch9wavefront6targetE1EEEvSP_,comdat
	.protected	_ZN7rocprim17ROCPRIM_400000_NS6detail17trampoline_kernelINS0_14default_configENS1_22reduce_config_selectorIiEEZNS1_11reduce_implILb1ES3_N6thrust23THRUST_200600_302600_NS11hip_rocprim35transform_pair_of_input_iterators_tIiNS8_6detail15normal_iteratorINS8_10device_ptrIKcEEEESG_13is_word_startEEPiiNS8_4plusIiEEEE10hipError_tPvRmT1_T2_T3_mT4_P12ihipStream_tbEUlT_E0_NS1_11comp_targetILNS1_3genE5ELNS1_11target_archE942ELNS1_3gpuE9ELNS1_3repE0EEENS1_30default_config_static_selectorELNS0_4arch9wavefront6targetE1EEEvSP_ ; -- Begin function _ZN7rocprim17ROCPRIM_400000_NS6detail17trampoline_kernelINS0_14default_configENS1_22reduce_config_selectorIiEEZNS1_11reduce_implILb1ES3_N6thrust23THRUST_200600_302600_NS11hip_rocprim35transform_pair_of_input_iterators_tIiNS8_6detail15normal_iteratorINS8_10device_ptrIKcEEEESG_13is_word_startEEPiiNS8_4plusIiEEEE10hipError_tPvRmT1_T2_T3_mT4_P12ihipStream_tbEUlT_E0_NS1_11comp_targetILNS1_3genE5ELNS1_11target_archE942ELNS1_3gpuE9ELNS1_3repE0EEENS1_30default_config_static_selectorELNS0_4arch9wavefront6targetE1EEEvSP_
	.globl	_ZN7rocprim17ROCPRIM_400000_NS6detail17trampoline_kernelINS0_14default_configENS1_22reduce_config_selectorIiEEZNS1_11reduce_implILb1ES3_N6thrust23THRUST_200600_302600_NS11hip_rocprim35transform_pair_of_input_iterators_tIiNS8_6detail15normal_iteratorINS8_10device_ptrIKcEEEESG_13is_word_startEEPiiNS8_4plusIiEEEE10hipError_tPvRmT1_T2_T3_mT4_P12ihipStream_tbEUlT_E0_NS1_11comp_targetILNS1_3genE5ELNS1_11target_archE942ELNS1_3gpuE9ELNS1_3repE0EEENS1_30default_config_static_selectorELNS0_4arch9wavefront6targetE1EEEvSP_
	.p2align	8
	.type	_ZN7rocprim17ROCPRIM_400000_NS6detail17trampoline_kernelINS0_14default_configENS1_22reduce_config_selectorIiEEZNS1_11reduce_implILb1ES3_N6thrust23THRUST_200600_302600_NS11hip_rocprim35transform_pair_of_input_iterators_tIiNS8_6detail15normal_iteratorINS8_10device_ptrIKcEEEESG_13is_word_startEEPiiNS8_4plusIiEEEE10hipError_tPvRmT1_T2_T3_mT4_P12ihipStream_tbEUlT_E0_NS1_11comp_targetILNS1_3genE5ELNS1_11target_archE942ELNS1_3gpuE9ELNS1_3repE0EEENS1_30default_config_static_selectorELNS0_4arch9wavefront6targetE1EEEvSP_,@function
_ZN7rocprim17ROCPRIM_400000_NS6detail17trampoline_kernelINS0_14default_configENS1_22reduce_config_selectorIiEEZNS1_11reduce_implILb1ES3_N6thrust23THRUST_200600_302600_NS11hip_rocprim35transform_pair_of_input_iterators_tIiNS8_6detail15normal_iteratorINS8_10device_ptrIKcEEEESG_13is_word_startEEPiiNS8_4plusIiEEEE10hipError_tPvRmT1_T2_T3_mT4_P12ihipStream_tbEUlT_E0_NS1_11comp_targetILNS1_3genE5ELNS1_11target_archE942ELNS1_3gpuE9ELNS1_3repE0EEENS1_30default_config_static_selectorELNS0_4arch9wavefront6targetE1EEEvSP_: ; @_ZN7rocprim17ROCPRIM_400000_NS6detail17trampoline_kernelINS0_14default_configENS1_22reduce_config_selectorIiEEZNS1_11reduce_implILb1ES3_N6thrust23THRUST_200600_302600_NS11hip_rocprim35transform_pair_of_input_iterators_tIiNS8_6detail15normal_iteratorINS8_10device_ptrIKcEEEESG_13is_word_startEEPiiNS8_4plusIiEEEE10hipError_tPvRmT1_T2_T3_mT4_P12ihipStream_tbEUlT_E0_NS1_11comp_targetILNS1_3genE5ELNS1_11target_archE942ELNS1_3gpuE9ELNS1_3repE0EEENS1_30default_config_static_selectorELNS0_4arch9wavefront6targetE1EEEvSP_
; %bb.0:
	.section	.rodata,"a",@progbits
	.p2align	6, 0x0
	.amdhsa_kernel _ZN7rocprim17ROCPRIM_400000_NS6detail17trampoline_kernelINS0_14default_configENS1_22reduce_config_selectorIiEEZNS1_11reduce_implILb1ES3_N6thrust23THRUST_200600_302600_NS11hip_rocprim35transform_pair_of_input_iterators_tIiNS8_6detail15normal_iteratorINS8_10device_ptrIKcEEEESG_13is_word_startEEPiiNS8_4plusIiEEEE10hipError_tPvRmT1_T2_T3_mT4_P12ihipStream_tbEUlT_E0_NS1_11comp_targetILNS1_3genE5ELNS1_11target_archE942ELNS1_3gpuE9ELNS1_3repE0EEENS1_30default_config_static_selectorELNS0_4arch9wavefront6targetE1EEEvSP_
		.amdhsa_group_segment_fixed_size 0
		.amdhsa_private_segment_fixed_size 0
		.amdhsa_kernarg_size 72
		.amdhsa_user_sgpr_count 6
		.amdhsa_user_sgpr_private_segment_buffer 1
		.amdhsa_user_sgpr_dispatch_ptr 0
		.amdhsa_user_sgpr_queue_ptr 0
		.amdhsa_user_sgpr_kernarg_segment_ptr 1
		.amdhsa_user_sgpr_dispatch_id 0
		.amdhsa_user_sgpr_flat_scratch_init 0
		.amdhsa_user_sgpr_kernarg_preload_length 0
		.amdhsa_user_sgpr_kernarg_preload_offset 0
		.amdhsa_user_sgpr_private_segment_size 0
		.amdhsa_uses_dynamic_stack 0
		.amdhsa_system_sgpr_private_segment_wavefront_offset 0
		.amdhsa_system_sgpr_workgroup_id_x 1
		.amdhsa_system_sgpr_workgroup_id_y 0
		.amdhsa_system_sgpr_workgroup_id_z 0
		.amdhsa_system_sgpr_workgroup_info 0
		.amdhsa_system_vgpr_workitem_id 0
		.amdhsa_next_free_vgpr 1
		.amdhsa_next_free_sgpr 0
		.amdhsa_accum_offset 4
		.amdhsa_reserve_vcc 0
		.amdhsa_reserve_flat_scratch 0
		.amdhsa_float_round_mode_32 0
		.amdhsa_float_round_mode_16_64 0
		.amdhsa_float_denorm_mode_32 3
		.amdhsa_float_denorm_mode_16_64 3
		.amdhsa_dx10_clamp 1
		.amdhsa_ieee_mode 1
		.amdhsa_fp16_overflow 0
		.amdhsa_tg_split 0
		.amdhsa_exception_fp_ieee_invalid_op 0
		.amdhsa_exception_fp_denorm_src 0
		.amdhsa_exception_fp_ieee_div_zero 0
		.amdhsa_exception_fp_ieee_overflow 0
		.amdhsa_exception_fp_ieee_underflow 0
		.amdhsa_exception_fp_ieee_inexact 0
		.amdhsa_exception_int_div_zero 0
	.end_amdhsa_kernel
	.section	.text._ZN7rocprim17ROCPRIM_400000_NS6detail17trampoline_kernelINS0_14default_configENS1_22reduce_config_selectorIiEEZNS1_11reduce_implILb1ES3_N6thrust23THRUST_200600_302600_NS11hip_rocprim35transform_pair_of_input_iterators_tIiNS8_6detail15normal_iteratorINS8_10device_ptrIKcEEEESG_13is_word_startEEPiiNS8_4plusIiEEEE10hipError_tPvRmT1_T2_T3_mT4_P12ihipStream_tbEUlT_E0_NS1_11comp_targetILNS1_3genE5ELNS1_11target_archE942ELNS1_3gpuE9ELNS1_3repE0EEENS1_30default_config_static_selectorELNS0_4arch9wavefront6targetE1EEEvSP_,"axG",@progbits,_ZN7rocprim17ROCPRIM_400000_NS6detail17trampoline_kernelINS0_14default_configENS1_22reduce_config_selectorIiEEZNS1_11reduce_implILb1ES3_N6thrust23THRUST_200600_302600_NS11hip_rocprim35transform_pair_of_input_iterators_tIiNS8_6detail15normal_iteratorINS8_10device_ptrIKcEEEESG_13is_word_startEEPiiNS8_4plusIiEEEE10hipError_tPvRmT1_T2_T3_mT4_P12ihipStream_tbEUlT_E0_NS1_11comp_targetILNS1_3genE5ELNS1_11target_archE942ELNS1_3gpuE9ELNS1_3repE0EEENS1_30default_config_static_selectorELNS0_4arch9wavefront6targetE1EEEvSP_,comdat
.Lfunc_end19:
	.size	_ZN7rocprim17ROCPRIM_400000_NS6detail17trampoline_kernelINS0_14default_configENS1_22reduce_config_selectorIiEEZNS1_11reduce_implILb1ES3_N6thrust23THRUST_200600_302600_NS11hip_rocprim35transform_pair_of_input_iterators_tIiNS8_6detail15normal_iteratorINS8_10device_ptrIKcEEEESG_13is_word_startEEPiiNS8_4plusIiEEEE10hipError_tPvRmT1_T2_T3_mT4_P12ihipStream_tbEUlT_E0_NS1_11comp_targetILNS1_3genE5ELNS1_11target_archE942ELNS1_3gpuE9ELNS1_3repE0EEENS1_30default_config_static_selectorELNS0_4arch9wavefront6targetE1EEEvSP_, .Lfunc_end19-_ZN7rocprim17ROCPRIM_400000_NS6detail17trampoline_kernelINS0_14default_configENS1_22reduce_config_selectorIiEEZNS1_11reduce_implILb1ES3_N6thrust23THRUST_200600_302600_NS11hip_rocprim35transform_pair_of_input_iterators_tIiNS8_6detail15normal_iteratorINS8_10device_ptrIKcEEEESG_13is_word_startEEPiiNS8_4plusIiEEEE10hipError_tPvRmT1_T2_T3_mT4_P12ihipStream_tbEUlT_E0_NS1_11comp_targetILNS1_3genE5ELNS1_11target_archE942ELNS1_3gpuE9ELNS1_3repE0EEENS1_30default_config_static_selectorELNS0_4arch9wavefront6targetE1EEEvSP_
                                        ; -- End function
	.section	.AMDGPU.csdata,"",@progbits
; Kernel info:
; codeLenInByte = 0
; NumSgprs: 4
; NumVgprs: 0
; NumAgprs: 0
; TotalNumVgprs: 0
; ScratchSize: 0
; MemoryBound: 0
; FloatMode: 240
; IeeeMode: 1
; LDSByteSize: 0 bytes/workgroup (compile time only)
; SGPRBlocks: 0
; VGPRBlocks: 0
; NumSGPRsForWavesPerEU: 4
; NumVGPRsForWavesPerEU: 1
; AccumOffset: 4
; Occupancy: 8
; WaveLimiterHint : 0
; COMPUTE_PGM_RSRC2:SCRATCH_EN: 0
; COMPUTE_PGM_RSRC2:USER_SGPR: 6
; COMPUTE_PGM_RSRC2:TRAP_HANDLER: 0
; COMPUTE_PGM_RSRC2:TGID_X_EN: 1
; COMPUTE_PGM_RSRC2:TGID_Y_EN: 0
; COMPUTE_PGM_RSRC2:TGID_Z_EN: 0
; COMPUTE_PGM_RSRC2:TIDIG_COMP_CNT: 0
; COMPUTE_PGM_RSRC3_GFX90A:ACCUM_OFFSET: 0
; COMPUTE_PGM_RSRC3_GFX90A:TG_SPLIT: 0
	.section	.text._ZN7rocprim17ROCPRIM_400000_NS6detail17trampoline_kernelINS0_14default_configENS1_22reduce_config_selectorIiEEZNS1_11reduce_implILb1ES3_N6thrust23THRUST_200600_302600_NS11hip_rocprim35transform_pair_of_input_iterators_tIiNS8_6detail15normal_iteratorINS8_10device_ptrIKcEEEESG_13is_word_startEEPiiNS8_4plusIiEEEE10hipError_tPvRmT1_T2_T3_mT4_P12ihipStream_tbEUlT_E0_NS1_11comp_targetILNS1_3genE4ELNS1_11target_archE910ELNS1_3gpuE8ELNS1_3repE0EEENS1_30default_config_static_selectorELNS0_4arch9wavefront6targetE1EEEvSP_,"axG",@progbits,_ZN7rocprim17ROCPRIM_400000_NS6detail17trampoline_kernelINS0_14default_configENS1_22reduce_config_selectorIiEEZNS1_11reduce_implILb1ES3_N6thrust23THRUST_200600_302600_NS11hip_rocprim35transform_pair_of_input_iterators_tIiNS8_6detail15normal_iteratorINS8_10device_ptrIKcEEEESG_13is_word_startEEPiiNS8_4plusIiEEEE10hipError_tPvRmT1_T2_T3_mT4_P12ihipStream_tbEUlT_E0_NS1_11comp_targetILNS1_3genE4ELNS1_11target_archE910ELNS1_3gpuE8ELNS1_3repE0EEENS1_30default_config_static_selectorELNS0_4arch9wavefront6targetE1EEEvSP_,comdat
	.protected	_ZN7rocprim17ROCPRIM_400000_NS6detail17trampoline_kernelINS0_14default_configENS1_22reduce_config_selectorIiEEZNS1_11reduce_implILb1ES3_N6thrust23THRUST_200600_302600_NS11hip_rocprim35transform_pair_of_input_iterators_tIiNS8_6detail15normal_iteratorINS8_10device_ptrIKcEEEESG_13is_word_startEEPiiNS8_4plusIiEEEE10hipError_tPvRmT1_T2_T3_mT4_P12ihipStream_tbEUlT_E0_NS1_11comp_targetILNS1_3genE4ELNS1_11target_archE910ELNS1_3gpuE8ELNS1_3repE0EEENS1_30default_config_static_selectorELNS0_4arch9wavefront6targetE1EEEvSP_ ; -- Begin function _ZN7rocprim17ROCPRIM_400000_NS6detail17trampoline_kernelINS0_14default_configENS1_22reduce_config_selectorIiEEZNS1_11reduce_implILb1ES3_N6thrust23THRUST_200600_302600_NS11hip_rocprim35transform_pair_of_input_iterators_tIiNS8_6detail15normal_iteratorINS8_10device_ptrIKcEEEESG_13is_word_startEEPiiNS8_4plusIiEEEE10hipError_tPvRmT1_T2_T3_mT4_P12ihipStream_tbEUlT_E0_NS1_11comp_targetILNS1_3genE4ELNS1_11target_archE910ELNS1_3gpuE8ELNS1_3repE0EEENS1_30default_config_static_selectorELNS0_4arch9wavefront6targetE1EEEvSP_
	.globl	_ZN7rocprim17ROCPRIM_400000_NS6detail17trampoline_kernelINS0_14default_configENS1_22reduce_config_selectorIiEEZNS1_11reduce_implILb1ES3_N6thrust23THRUST_200600_302600_NS11hip_rocprim35transform_pair_of_input_iterators_tIiNS8_6detail15normal_iteratorINS8_10device_ptrIKcEEEESG_13is_word_startEEPiiNS8_4plusIiEEEE10hipError_tPvRmT1_T2_T3_mT4_P12ihipStream_tbEUlT_E0_NS1_11comp_targetILNS1_3genE4ELNS1_11target_archE910ELNS1_3gpuE8ELNS1_3repE0EEENS1_30default_config_static_selectorELNS0_4arch9wavefront6targetE1EEEvSP_
	.p2align	8
	.type	_ZN7rocprim17ROCPRIM_400000_NS6detail17trampoline_kernelINS0_14default_configENS1_22reduce_config_selectorIiEEZNS1_11reduce_implILb1ES3_N6thrust23THRUST_200600_302600_NS11hip_rocprim35transform_pair_of_input_iterators_tIiNS8_6detail15normal_iteratorINS8_10device_ptrIKcEEEESG_13is_word_startEEPiiNS8_4plusIiEEEE10hipError_tPvRmT1_T2_T3_mT4_P12ihipStream_tbEUlT_E0_NS1_11comp_targetILNS1_3genE4ELNS1_11target_archE910ELNS1_3gpuE8ELNS1_3repE0EEENS1_30default_config_static_selectorELNS0_4arch9wavefront6targetE1EEEvSP_,@function
_ZN7rocprim17ROCPRIM_400000_NS6detail17trampoline_kernelINS0_14default_configENS1_22reduce_config_selectorIiEEZNS1_11reduce_implILb1ES3_N6thrust23THRUST_200600_302600_NS11hip_rocprim35transform_pair_of_input_iterators_tIiNS8_6detail15normal_iteratorINS8_10device_ptrIKcEEEESG_13is_word_startEEPiiNS8_4plusIiEEEE10hipError_tPvRmT1_T2_T3_mT4_P12ihipStream_tbEUlT_E0_NS1_11comp_targetILNS1_3genE4ELNS1_11target_archE910ELNS1_3gpuE8ELNS1_3repE0EEENS1_30default_config_static_selectorELNS0_4arch9wavefront6targetE1EEEvSP_: ; @_ZN7rocprim17ROCPRIM_400000_NS6detail17trampoline_kernelINS0_14default_configENS1_22reduce_config_selectorIiEEZNS1_11reduce_implILb1ES3_N6thrust23THRUST_200600_302600_NS11hip_rocprim35transform_pair_of_input_iterators_tIiNS8_6detail15normal_iteratorINS8_10device_ptrIKcEEEESG_13is_word_startEEPiiNS8_4plusIiEEEE10hipError_tPvRmT1_T2_T3_mT4_P12ihipStream_tbEUlT_E0_NS1_11comp_targetILNS1_3genE4ELNS1_11target_archE910ELNS1_3gpuE8ELNS1_3repE0EEENS1_30default_config_static_selectorELNS0_4arch9wavefront6targetE1EEEvSP_
; %bb.0:
	s_load_dwordx4 s[0:3], s[4:5], 0x0
	s_load_dwordx8 s[16:23], s[4:5], 0x18
	s_load_dwordx2 s[24:25], s[4:5], 0x38
	s_mov_b32 s7, 0
	v_mbcnt_lo_u32_b32 v1, -1, 0
	s_waitcnt lgkmcnt(0)
	s_add_u32 s8, s0, s16
	s_addc_u32 s9, s1, s17
	s_add_u32 s10, s2, s16
	s_addc_u32 s3, s3, s17
	s_lshl_b32 s2, s6, 10
	s_lshr_b64 s[0:1], s[18:19], 10
	s_add_u32 s28, s8, s2
	s_addc_u32 s29, s9, 0
	s_add_u32 s26, s10, s2
	s_addc_u32 s27, s3, 0
	s_cmp_lg_u64 s[0:1], s[6:7]
	s_cbranch_scc0 .LBB20_6
; %bb.1:
	v_mov_b32_e32 v3, s29
	v_add_co_u32_e32 v2, vcc, s28, v0
	v_addc_co_u32_e32 v3, vcc, 0, v3, vcc
	v_mov_b32_e32 v5, s27
	v_add_co_u32_e32 v4, vcc, s26, v0
	v_addc_co_u32_e32 v5, vcc, 0, v5, vcc
	flat_load_ubyte v6, v[4:5]
	flat_load_ubyte v7, v[2:3]
	flat_load_ubyte v8, v[4:5] offset:128
	flat_load_ubyte v9, v[2:3] offset:128
	;; [unrolled: 1-line block ×13, first 2 shown]
                                        ; kill: killed $vgpr4 killed $vgpr5
	s_nop 0
	flat_load_ubyte v2, v[2:3] offset:896
	v_mov_b32_e32 v5, 58
	s_movk_i32 s3, 0xc6
	v_mbcnt_hi_u32_b32 v3, -1, v1
	v_lshlrev_b32_e32 v4, 2, v3
	s_waitcnt vmcnt(0) lgkmcnt(0)
	v_add_u16_e32 v6, 0xffbf, v6
	v_add_u16_e32 v7, 0xff85, v7
	;; [unrolled: 1-line block ×4, first 2 shown]
	v_cmp_lt_u16_sdwa s[0:1], v6, v5 src0_sel:BYTE_0 src1_sel:DWORD
	v_cmp_lt_u16_sdwa s[8:9], v7, s3 src0_sel:BYTE_0 src1_sel:DWORD
	v_add_u16_e32 v10, 0xffbf, v10
	v_add_u16_e32 v11, 0xff85, v11
	v_cmp_lt_u16_sdwa s[10:11], v8, v5 src0_sel:BYTE_0 src1_sel:DWORD
	v_cmp_lt_u16_sdwa s[12:13], v9, s3 src0_sel:BYTE_0 src1_sel:DWORD
	s_and_b64 s[0:1], s[0:1], s[8:9]
	v_add_u16_e32 v12, 0xffbf, v12
	v_add_u16_e32 v13, 0xff85, v13
	v_cmp_lt_u16_sdwa s[14:15], v10, v5 src0_sel:BYTE_0 src1_sel:DWORD
	v_cmp_lt_u16_sdwa s[16:17], v11, s3 src0_sel:BYTE_0 src1_sel:DWORD
	s_and_b64 vcc, s[10:11], s[12:13]
	v_add_u16_e32 v2, 0xff85, v2
	v_cmp_lt_u16_sdwa s[50:51], v2, s3 src0_sel:BYTE_0 src1_sel:DWORD
	v_cndmask_b32_e64 v2, 0, 1, s[0:1]
	v_add_u16_e32 v14, 0xffbf, v14
	v_add_u16_e32 v15, 0xff85, v15
	;; [unrolled: 1-line block ×5, first 2 shown]
	v_cmp_lt_u16_sdwa s[30:31], v12, v5 src0_sel:BYTE_0 src1_sel:DWORD
	v_cmp_lt_u16_sdwa s[34:35], v13, s3 src0_sel:BYTE_0 src1_sel:DWORD
	s_and_b64 s[0:1], s[14:15], s[16:17]
	v_addc_co_u32_e32 v2, vcc, 0, v2, vcc
	v_add_u16_e32 v17, 0xff85, v17
	v_cmp_lt_u16_sdwa s[36:37], v14, v5 src0_sel:BYTE_0 src1_sel:DWORD
	v_cmp_lt_u16_sdwa s[38:39], v15, s3 src0_sel:BYTE_0 src1_sel:DWORD
	;; [unrolled: 1-line block ×5, first 2 shown]
	v_cndmask_b32_e64 v5, 0, 1, s[0:1]
	s_and_b64 vcc, s[30:31], s[34:35]
	v_add_u16_e32 v19, 0xff85, v19
	v_cmp_lt_u16_sdwa s[42:43], v17, s3 src0_sel:BYTE_0 src1_sel:DWORD
	s_and_b64 s[0:1], s[36:37], s[38:39]
	v_addc_co_u32_e32 v2, vcc, v2, v5, vcc
	v_cmp_lt_u16_sdwa s[46:47], v19, s3 src0_sel:BYTE_0 src1_sel:DWORD
	v_cndmask_b32_e64 v6, 0, 1, s[0:1]
	s_and_b64 vcc, s[40:41], s[42:43]
	s_and_b64 s[0:1], s[44:45], s[46:47]
	v_addc_co_u32_e32 v2, vcc, v2, v6, vcc
	v_cndmask_b32_e64 v7, 0, 1, s[0:1]
	s_and_b64 vcc, s[48:49], s[50:51]
	v_addc_co_u32_e32 v2, vcc, v2, v7, vcc
	v_or_b32_e32 v5, 0xfc, v4
	s_nop 0
	v_add_u32_dpp v2, v2, v2 quad_perm:[1,0,3,2] row_mask:0xf bank_mask:0xf bound_ctrl:1
	v_cmp_eq_u32_e32 vcc, 0, v3
	s_nop 0
	v_add_u32_dpp v2, v2, v2 quad_perm:[2,3,0,1] row_mask:0xf bank_mask:0xf bound_ctrl:1
	s_nop 1
	v_add_u32_dpp v2, v2, v2 row_ror:4 row_mask:0xf bank_mask:0xf bound_ctrl:1
	s_nop 1
	v_add_u32_dpp v2, v2, v2 row_ror:8 row_mask:0xf bank_mask:0xf bound_ctrl:1
	s_nop 1
	v_add_u32_dpp v2, v2, v2 row_bcast:15 row_mask:0xf bank_mask:0xf bound_ctrl:1
	s_nop 1
	v_add_u32_dpp v2, v2, v2 row_bcast:31 row_mask:0xf bank_mask:0xf bound_ctrl:1
	ds_bpermute_b32 v2, v5, v2
	s_and_saveexec_b64 s[0:1], vcc
	s_cbranch_execz .LBB20_3
; %bb.2:
	v_lshrrev_b32_e32 v5, 4, v0
	v_and_b32_e32 v5, 4, v5
	s_waitcnt lgkmcnt(0)
	ds_write_b32 v5, v2
.LBB20_3:
	s_or_b64 exec, exec, s[0:1]
	v_cmp_gt_u32_e32 vcc, 64, v0
	s_waitcnt lgkmcnt(0)
	s_barrier
	s_and_saveexec_b64 s[0:1], vcc
	s_cbranch_execz .LBB20_5
; %bb.4:
	v_and_b32_e32 v2, 1, v3
	v_lshlrev_b32_e32 v2, 2, v2
	ds_read_b32 v2, v2
	v_or_b32_e32 v3, 4, v4
	s_waitcnt lgkmcnt(0)
	ds_bpermute_b32 v3, v3, v2
	s_waitcnt lgkmcnt(0)
	v_add_u32_e32 v2, v3, v2
.LBB20_5:
	s_or_b64 exec, exec, s[0:1]
	s_load_dword s30, s[4:5], 0x40
	s_branch .LBB20_28
.LBB20_6:
                                        ; implicit-def: $vgpr2
	s_load_dword s30, s[4:5], 0x40
	s_cbranch_execz .LBB20_28
; %bb.7:
	s_sub_i32 s31, s18, s2
	v_cmp_gt_u32_e32 vcc, s31, v0
                                        ; implicit-def: $vgpr2_vgpr3_vgpr4_vgpr5_vgpr6_vgpr7_vgpr8_vgpr9
	s_and_saveexec_b64 s[0:1], vcc
	s_cbranch_execz .LBB20_9
; %bb.8:
	v_mov_b32_e32 v3, s29
	v_add_co_u32_e32 v2, vcc, s28, v0
	v_addc_co_u32_e32 v3, vcc, 0, v3, vcc
	v_mov_b32_e32 v5, s27
	v_add_co_u32_e32 v4, vcc, s26, v0
	v_addc_co_u32_e32 v5, vcc, 0, v5, vcc
	flat_load_ubyte v6, v[4:5]
	flat_load_ubyte v7, v[2:3]
	v_mov_b32_e32 v2, 58
	s_movk_i32 s4, 0xc6
	s_waitcnt vmcnt(0) lgkmcnt(0)
	v_add_u16_e32 v3, 0xffbf, v6
	v_add_u16_e32 v4, 0xff85, v7
	v_cmp_lt_u16_sdwa s[2:3], v3, v2 src0_sel:BYTE_0 src1_sel:DWORD
	v_cmp_lt_u16_sdwa s[4:5], v4, s4 src0_sel:BYTE_0 src1_sel:DWORD
	s_and_b64 s[2:3], s[2:3], s[4:5]
	v_cndmask_b32_e64 v2, 0, 1, s[2:3]
.LBB20_9:
	s_or_b64 exec, exec, s[0:1]
	v_or_b32_e32 v10, 0x80, v0
	v_cmp_gt_u32_e32 vcc, s31, v10
	s_and_saveexec_b64 s[2:3], vcc
	s_cbranch_execz .LBB20_11
; %bb.10:
	v_mov_b32_e32 v3, s29
	v_add_co_u32_e64 v10, s[0:1], s28, v0
	v_addc_co_u32_e64 v11, s[0:1], 0, v3, s[0:1]
	v_mov_b32_e32 v3, s27
	v_add_co_u32_e64 v12, s[0:1], s26, v0
	v_addc_co_u32_e64 v13, s[0:1], 0, v3, s[0:1]
	flat_load_ubyte v3, v[12:13] offset:128
	flat_load_ubyte v14, v[10:11] offset:128
	v_mov_b32_e32 v10, 58
	s_movk_i32 s4, 0xc6
	s_waitcnt vmcnt(0) lgkmcnt(0)
	v_add_u16_e32 v3, 0xffbf, v3
	v_add_u16_e32 v11, 0xff85, v14
	v_cmp_lt_u16_sdwa s[0:1], v3, v10 src0_sel:BYTE_0 src1_sel:DWORD
	v_cmp_lt_u16_sdwa s[4:5], v11, s4 src0_sel:BYTE_0 src1_sel:DWORD
	s_and_b64 s[0:1], s[0:1], s[4:5]
	v_cndmask_b32_e64 v3, 0, 1, s[0:1]
.LBB20_11:
	s_or_b64 exec, exec, s[2:3]
	v_or_b32_e32 v10, 0x100, v0
	v_cmp_gt_u32_e64 s[0:1], s31, v10
	s_and_saveexec_b64 s[4:5], s[0:1]
	s_cbranch_execz .LBB20_13
; %bb.12:
	v_mov_b32_e32 v4, s29
	v_add_co_u32_e64 v10, s[2:3], s28, v0
	v_addc_co_u32_e64 v11, s[2:3], 0, v4, s[2:3]
	v_mov_b32_e32 v4, s27
	v_add_co_u32_e64 v12, s[2:3], s26, v0
	v_addc_co_u32_e64 v13, s[2:3], 0, v4, s[2:3]
	flat_load_ubyte v4, v[12:13] offset:256
	flat_load_ubyte v14, v[10:11] offset:256
	v_mov_b32_e32 v10, 58
	s_movk_i32 s8, 0xc6
	s_waitcnt vmcnt(0) lgkmcnt(0)
	v_add_u16_e32 v4, 0xffbf, v4
	v_add_u16_e32 v11, 0xff85, v14
	v_cmp_lt_u16_sdwa s[2:3], v4, v10 src0_sel:BYTE_0 src1_sel:DWORD
	v_cmp_lt_u16_sdwa s[8:9], v11, s8 src0_sel:BYTE_0 src1_sel:DWORD
	s_and_b64 s[2:3], s[2:3], s[8:9]
	v_cndmask_b32_e64 v4, 0, 1, s[2:3]
.LBB20_13:
	s_or_b64 exec, exec, s[4:5]
	v_or_b32_e32 v10, 0x180, v0
	v_cmp_gt_u32_e64 s[2:3], s31, v10
	s_and_saveexec_b64 s[8:9], s[2:3]
	;; [unrolled: 24-line block ×6, first 2 shown]
	s_cbranch_execz .LBB20_23
; %bb.22:
	v_mov_b32_e32 v9, s29
	v_add_co_u32_e64 v10, s[14:15], s28, v0
	v_addc_co_u32_e64 v11, s[14:15], 0, v9, s[14:15]
	v_mov_b32_e32 v9, s27
	v_add_co_u32_e64 v12, s[14:15], s26, v0
	v_addc_co_u32_e64 v13, s[14:15], 0, v9, s[14:15]
	flat_load_ubyte v9, v[12:13] offset:896
	flat_load_ubyte v14, v[10:11] offset:896
	v_mov_b32_e32 v10, 58
	s_movk_i32 s26, 0xc6
	s_waitcnt vmcnt(0) lgkmcnt(0)
	v_add_u16_e32 v9, 0xffbf, v9
	v_add_u16_e32 v11, 0xff85, v14
	v_cmp_lt_u16_sdwa s[14:15], v9, v10 src0_sel:BYTE_0 src1_sel:DWORD
	v_cmp_lt_u16_sdwa s[26:27], v11, s26 src0_sel:BYTE_0 src1_sel:DWORD
	s_and_b64 s[14:15], s[14:15], s[26:27]
	v_cndmask_b32_e64 v9, 0, 1, s[14:15]
.LBB20_23:
	s_or_b64 exec, exec, s[16:17]
	v_cndmask_b32_e32 v3, 0, v3, vcc
	v_add_u32_e32 v2, v3, v2
	v_cndmask_b32_e64 v3, 0, v4, s[0:1]
	v_cndmask_b32_e64 v4, 0, v5, s[2:3]
	v_add3_u32 v2, v2, v3, v4
	v_cndmask_b32_e64 v3, 0, v6, s[4:5]
	v_cndmask_b32_e64 v4, 0, v7, s[8:9]
	v_add3_u32 v2, v2, v3, v4
	v_cndmask_b32_e64 v3, 0, v8, s[10:11]
	v_cndmask_b32_e64 v4, 0, v9, s[12:13]
	v_mbcnt_hi_u32_b32 v1, -1, v1
	v_add3_u32 v2, v2, v3, v4
	v_and_b32_e32 v3, 63, v1
	v_cmp_ne_u32_e32 vcc, 63, v3
	v_addc_co_u32_e32 v4, vcc, 0, v1, vcc
	v_lshlrev_b32_e32 v4, 2, v4
	ds_bpermute_b32 v4, v4, v2
	s_min_u32 s2, s31, 0x80
	v_and_b32_e32 v5, 64, v0
	v_sub_u32_e64 v5, s2, v5 clamp
	v_add_u32_e32 v6, 1, v3
	v_cmp_lt_u32_e32 vcc, v6, v5
	s_waitcnt lgkmcnt(0)
	v_cndmask_b32_e32 v4, 0, v4, vcc
	v_cmp_gt_u32_e32 vcc, 62, v3
	v_add_u32_e32 v2, v2, v4
	v_cndmask_b32_e64 v4, 0, 1, vcc
	v_lshlrev_b32_e32 v4, 1, v4
	v_add_lshl_u32 v4, v4, v1, 2
	ds_bpermute_b32 v4, v4, v2
	v_add_u32_e32 v6, 2, v3
	v_cmp_lt_u32_e32 vcc, v6, v5
	v_add_u32_e32 v6, 4, v3
	s_waitcnt lgkmcnt(0)
	v_cndmask_b32_e32 v4, 0, v4, vcc
	v_cmp_gt_u32_e32 vcc, 60, v3
	v_add_u32_e32 v2, v2, v4
	v_cndmask_b32_e64 v4, 0, 1, vcc
	v_lshlrev_b32_e32 v4, 2, v4
	v_add_lshl_u32 v4, v4, v1, 2
	ds_bpermute_b32 v4, v4, v2
	v_cmp_lt_u32_e32 vcc, v6, v5
	v_add_u32_e32 v6, 8, v3
	s_waitcnt lgkmcnt(0)
	v_cndmask_b32_e32 v4, 0, v4, vcc
	v_cmp_gt_u32_e32 vcc, 56, v3
	v_add_u32_e32 v2, v2, v4
	v_cndmask_b32_e64 v4, 0, 1, vcc
	v_lshlrev_b32_e32 v4, 3, v4
	v_add_lshl_u32 v4, v4, v1, 2
	ds_bpermute_b32 v4, v4, v2
	;; [unrolled: 10-line block ×3, first 2 shown]
	v_cmp_lt_u32_e32 vcc, v6, v5
	s_waitcnt lgkmcnt(0)
	v_cndmask_b32_e32 v4, 0, v4, vcc
	v_cmp_gt_u32_e32 vcc, 32, v3
	v_add_u32_e32 v2, v2, v4
	v_cndmask_b32_e64 v4, 0, 1, vcc
	v_lshlrev_b32_e32 v4, 5, v4
	v_add_lshl_u32 v4, v4, v1, 2
	ds_bpermute_b32 v4, v4, v2
	v_add_u32_e32 v3, 32, v3
	v_cmp_lt_u32_e32 vcc, v3, v5
	s_waitcnt lgkmcnt(0)
	v_cndmask_b32_e32 v3, 0, v4, vcc
	v_add_u32_e32 v2, v2, v3
	v_cmp_eq_u32_e32 vcc, 0, v1
	s_and_saveexec_b64 s[0:1], vcc
	s_cbranch_execz .LBB20_25
; %bb.24:
	v_lshrrev_b32_e32 v3, 4, v0
	v_and_b32_e32 v3, 4, v3
	ds_write_b32 v3, v2 offset:8
.LBB20_25:
	s_or_b64 exec, exec, s[0:1]
	v_cmp_gt_u32_e32 vcc, 2, v0
	s_waitcnt lgkmcnt(0)
	s_barrier
	s_and_saveexec_b64 s[0:1], vcc
	s_cbranch_execz .LBB20_27
; %bb.26:
	v_lshlrev_b32_e32 v2, 2, v1
	ds_read_b32 v3, v2 offset:8
	v_or_b32_e32 v2, 4, v2
	s_add_i32 s2, s2, 63
	v_and_b32_e32 v1, 1, v1
	s_lshr_b32 s2, s2, 6
	s_waitcnt lgkmcnt(0)
	ds_bpermute_b32 v2, v2, v3
	v_add_u32_e32 v1, 1, v1
	v_cmp_gt_u32_e32 vcc, s2, v1
	s_waitcnt lgkmcnt(0)
	v_cndmask_b32_e32 v1, 0, v2, vcc
	v_add_u32_e32 v2, v1, v3
.LBB20_27:
	s_or_b64 exec, exec, s[0:1]
.LBB20_28:
	v_cmp_eq_u32_e32 vcc, 0, v0
	s_and_saveexec_b64 s[0:1], vcc
	s_cbranch_execnz .LBB20_30
; %bb.29:
	s_endpgm
.LBB20_30:
	s_mul_i32 s0, s24, s23
	s_mul_hi_u32 s1, s24, s22
	s_add_i32 s0, s1, s0
	s_mul_i32 s1, s25, s22
	s_add_i32 s1, s0, s1
	s_mul_i32 s0, s24, s22
	s_lshl_b64 s[0:1], s[0:1], 2
	s_add_u32 s2, s20, s0
	s_addc_u32 s3, s21, s1
	s_cmp_eq_u64 s[18:19], 0
	s_cselect_b64 vcc, -1, 0
	s_lshl_b64 s[0:1], s[6:7], 2
	s_waitcnt lgkmcnt(0)
	v_mov_b32_e32 v0, s30
	s_add_u32 s0, s2, s0
	v_cndmask_b32_e32 v0, v2, v0, vcc
	s_addc_u32 s1, s3, s1
	v_mov_b32_e32 v1, 0
	global_store_dword v1, v0, s[0:1]
	s_endpgm
	.section	.rodata,"a",@progbits
	.p2align	6, 0x0
	.amdhsa_kernel _ZN7rocprim17ROCPRIM_400000_NS6detail17trampoline_kernelINS0_14default_configENS1_22reduce_config_selectorIiEEZNS1_11reduce_implILb1ES3_N6thrust23THRUST_200600_302600_NS11hip_rocprim35transform_pair_of_input_iterators_tIiNS8_6detail15normal_iteratorINS8_10device_ptrIKcEEEESG_13is_word_startEEPiiNS8_4plusIiEEEE10hipError_tPvRmT1_T2_T3_mT4_P12ihipStream_tbEUlT_E0_NS1_11comp_targetILNS1_3genE4ELNS1_11target_archE910ELNS1_3gpuE8ELNS1_3repE0EEENS1_30default_config_static_selectorELNS0_4arch9wavefront6targetE1EEEvSP_
		.amdhsa_group_segment_fixed_size 16
		.amdhsa_private_segment_fixed_size 0
		.amdhsa_kernarg_size 72
		.amdhsa_user_sgpr_count 6
		.amdhsa_user_sgpr_private_segment_buffer 1
		.amdhsa_user_sgpr_dispatch_ptr 0
		.amdhsa_user_sgpr_queue_ptr 0
		.amdhsa_user_sgpr_kernarg_segment_ptr 1
		.amdhsa_user_sgpr_dispatch_id 0
		.amdhsa_user_sgpr_flat_scratch_init 0
		.amdhsa_user_sgpr_kernarg_preload_length 0
		.amdhsa_user_sgpr_kernarg_preload_offset 0
		.amdhsa_user_sgpr_private_segment_size 0
		.amdhsa_uses_dynamic_stack 0
		.amdhsa_system_sgpr_private_segment_wavefront_offset 0
		.amdhsa_system_sgpr_workgroup_id_x 1
		.amdhsa_system_sgpr_workgroup_id_y 0
		.amdhsa_system_sgpr_workgroup_id_z 0
		.amdhsa_system_sgpr_workgroup_info 0
		.amdhsa_system_vgpr_workitem_id 0
		.amdhsa_next_free_vgpr 21
		.amdhsa_next_free_sgpr 52
		.amdhsa_accum_offset 24
		.amdhsa_reserve_vcc 1
		.amdhsa_reserve_flat_scratch 0
		.amdhsa_float_round_mode_32 0
		.amdhsa_float_round_mode_16_64 0
		.amdhsa_float_denorm_mode_32 3
		.amdhsa_float_denorm_mode_16_64 3
		.amdhsa_dx10_clamp 1
		.amdhsa_ieee_mode 1
		.amdhsa_fp16_overflow 0
		.amdhsa_tg_split 0
		.amdhsa_exception_fp_ieee_invalid_op 0
		.amdhsa_exception_fp_denorm_src 0
		.amdhsa_exception_fp_ieee_div_zero 0
		.amdhsa_exception_fp_ieee_overflow 0
		.amdhsa_exception_fp_ieee_underflow 0
		.amdhsa_exception_fp_ieee_inexact 0
		.amdhsa_exception_int_div_zero 0
	.end_amdhsa_kernel
	.section	.text._ZN7rocprim17ROCPRIM_400000_NS6detail17trampoline_kernelINS0_14default_configENS1_22reduce_config_selectorIiEEZNS1_11reduce_implILb1ES3_N6thrust23THRUST_200600_302600_NS11hip_rocprim35transform_pair_of_input_iterators_tIiNS8_6detail15normal_iteratorINS8_10device_ptrIKcEEEESG_13is_word_startEEPiiNS8_4plusIiEEEE10hipError_tPvRmT1_T2_T3_mT4_P12ihipStream_tbEUlT_E0_NS1_11comp_targetILNS1_3genE4ELNS1_11target_archE910ELNS1_3gpuE8ELNS1_3repE0EEENS1_30default_config_static_selectorELNS0_4arch9wavefront6targetE1EEEvSP_,"axG",@progbits,_ZN7rocprim17ROCPRIM_400000_NS6detail17trampoline_kernelINS0_14default_configENS1_22reduce_config_selectorIiEEZNS1_11reduce_implILb1ES3_N6thrust23THRUST_200600_302600_NS11hip_rocprim35transform_pair_of_input_iterators_tIiNS8_6detail15normal_iteratorINS8_10device_ptrIKcEEEESG_13is_word_startEEPiiNS8_4plusIiEEEE10hipError_tPvRmT1_T2_T3_mT4_P12ihipStream_tbEUlT_E0_NS1_11comp_targetILNS1_3genE4ELNS1_11target_archE910ELNS1_3gpuE8ELNS1_3repE0EEENS1_30default_config_static_selectorELNS0_4arch9wavefront6targetE1EEEvSP_,comdat
.Lfunc_end20:
	.size	_ZN7rocprim17ROCPRIM_400000_NS6detail17trampoline_kernelINS0_14default_configENS1_22reduce_config_selectorIiEEZNS1_11reduce_implILb1ES3_N6thrust23THRUST_200600_302600_NS11hip_rocprim35transform_pair_of_input_iterators_tIiNS8_6detail15normal_iteratorINS8_10device_ptrIKcEEEESG_13is_word_startEEPiiNS8_4plusIiEEEE10hipError_tPvRmT1_T2_T3_mT4_P12ihipStream_tbEUlT_E0_NS1_11comp_targetILNS1_3genE4ELNS1_11target_archE910ELNS1_3gpuE8ELNS1_3repE0EEENS1_30default_config_static_selectorELNS0_4arch9wavefront6targetE1EEEvSP_, .Lfunc_end20-_ZN7rocprim17ROCPRIM_400000_NS6detail17trampoline_kernelINS0_14default_configENS1_22reduce_config_selectorIiEEZNS1_11reduce_implILb1ES3_N6thrust23THRUST_200600_302600_NS11hip_rocprim35transform_pair_of_input_iterators_tIiNS8_6detail15normal_iteratorINS8_10device_ptrIKcEEEESG_13is_word_startEEPiiNS8_4plusIiEEEE10hipError_tPvRmT1_T2_T3_mT4_P12ihipStream_tbEUlT_E0_NS1_11comp_targetILNS1_3genE4ELNS1_11target_archE910ELNS1_3gpuE8ELNS1_3repE0EEENS1_30default_config_static_selectorELNS0_4arch9wavefront6targetE1EEEvSP_
                                        ; -- End function
	.section	.AMDGPU.csdata,"",@progbits
; Kernel info:
; codeLenInByte = 2536
; NumSgprs: 56
; NumVgprs: 21
; NumAgprs: 0
; TotalNumVgprs: 21
; ScratchSize: 0
; MemoryBound: 0
; FloatMode: 240
; IeeeMode: 1
; LDSByteSize: 16 bytes/workgroup (compile time only)
; SGPRBlocks: 6
; VGPRBlocks: 2
; NumSGPRsForWavesPerEU: 56
; NumVGPRsForWavesPerEU: 21
; AccumOffset: 24
; Occupancy: 8
; WaveLimiterHint : 0
; COMPUTE_PGM_RSRC2:SCRATCH_EN: 0
; COMPUTE_PGM_RSRC2:USER_SGPR: 6
; COMPUTE_PGM_RSRC2:TRAP_HANDLER: 0
; COMPUTE_PGM_RSRC2:TGID_X_EN: 1
; COMPUTE_PGM_RSRC2:TGID_Y_EN: 0
; COMPUTE_PGM_RSRC2:TGID_Z_EN: 0
; COMPUTE_PGM_RSRC2:TIDIG_COMP_CNT: 0
; COMPUTE_PGM_RSRC3_GFX90A:ACCUM_OFFSET: 5
; COMPUTE_PGM_RSRC3_GFX90A:TG_SPLIT: 0
	.section	.text._ZN7rocprim17ROCPRIM_400000_NS6detail17trampoline_kernelINS0_14default_configENS1_22reduce_config_selectorIiEEZNS1_11reduce_implILb1ES3_N6thrust23THRUST_200600_302600_NS11hip_rocprim35transform_pair_of_input_iterators_tIiNS8_6detail15normal_iteratorINS8_10device_ptrIKcEEEESG_13is_word_startEEPiiNS8_4plusIiEEEE10hipError_tPvRmT1_T2_T3_mT4_P12ihipStream_tbEUlT_E0_NS1_11comp_targetILNS1_3genE3ELNS1_11target_archE908ELNS1_3gpuE7ELNS1_3repE0EEENS1_30default_config_static_selectorELNS0_4arch9wavefront6targetE1EEEvSP_,"axG",@progbits,_ZN7rocprim17ROCPRIM_400000_NS6detail17trampoline_kernelINS0_14default_configENS1_22reduce_config_selectorIiEEZNS1_11reduce_implILb1ES3_N6thrust23THRUST_200600_302600_NS11hip_rocprim35transform_pair_of_input_iterators_tIiNS8_6detail15normal_iteratorINS8_10device_ptrIKcEEEESG_13is_word_startEEPiiNS8_4plusIiEEEE10hipError_tPvRmT1_T2_T3_mT4_P12ihipStream_tbEUlT_E0_NS1_11comp_targetILNS1_3genE3ELNS1_11target_archE908ELNS1_3gpuE7ELNS1_3repE0EEENS1_30default_config_static_selectorELNS0_4arch9wavefront6targetE1EEEvSP_,comdat
	.protected	_ZN7rocprim17ROCPRIM_400000_NS6detail17trampoline_kernelINS0_14default_configENS1_22reduce_config_selectorIiEEZNS1_11reduce_implILb1ES3_N6thrust23THRUST_200600_302600_NS11hip_rocprim35transform_pair_of_input_iterators_tIiNS8_6detail15normal_iteratorINS8_10device_ptrIKcEEEESG_13is_word_startEEPiiNS8_4plusIiEEEE10hipError_tPvRmT1_T2_T3_mT4_P12ihipStream_tbEUlT_E0_NS1_11comp_targetILNS1_3genE3ELNS1_11target_archE908ELNS1_3gpuE7ELNS1_3repE0EEENS1_30default_config_static_selectorELNS0_4arch9wavefront6targetE1EEEvSP_ ; -- Begin function _ZN7rocprim17ROCPRIM_400000_NS6detail17trampoline_kernelINS0_14default_configENS1_22reduce_config_selectorIiEEZNS1_11reduce_implILb1ES3_N6thrust23THRUST_200600_302600_NS11hip_rocprim35transform_pair_of_input_iterators_tIiNS8_6detail15normal_iteratorINS8_10device_ptrIKcEEEESG_13is_word_startEEPiiNS8_4plusIiEEEE10hipError_tPvRmT1_T2_T3_mT4_P12ihipStream_tbEUlT_E0_NS1_11comp_targetILNS1_3genE3ELNS1_11target_archE908ELNS1_3gpuE7ELNS1_3repE0EEENS1_30default_config_static_selectorELNS0_4arch9wavefront6targetE1EEEvSP_
	.globl	_ZN7rocprim17ROCPRIM_400000_NS6detail17trampoline_kernelINS0_14default_configENS1_22reduce_config_selectorIiEEZNS1_11reduce_implILb1ES3_N6thrust23THRUST_200600_302600_NS11hip_rocprim35transform_pair_of_input_iterators_tIiNS8_6detail15normal_iteratorINS8_10device_ptrIKcEEEESG_13is_word_startEEPiiNS8_4plusIiEEEE10hipError_tPvRmT1_T2_T3_mT4_P12ihipStream_tbEUlT_E0_NS1_11comp_targetILNS1_3genE3ELNS1_11target_archE908ELNS1_3gpuE7ELNS1_3repE0EEENS1_30default_config_static_selectorELNS0_4arch9wavefront6targetE1EEEvSP_
	.p2align	8
	.type	_ZN7rocprim17ROCPRIM_400000_NS6detail17trampoline_kernelINS0_14default_configENS1_22reduce_config_selectorIiEEZNS1_11reduce_implILb1ES3_N6thrust23THRUST_200600_302600_NS11hip_rocprim35transform_pair_of_input_iterators_tIiNS8_6detail15normal_iteratorINS8_10device_ptrIKcEEEESG_13is_word_startEEPiiNS8_4plusIiEEEE10hipError_tPvRmT1_T2_T3_mT4_P12ihipStream_tbEUlT_E0_NS1_11comp_targetILNS1_3genE3ELNS1_11target_archE908ELNS1_3gpuE7ELNS1_3repE0EEENS1_30default_config_static_selectorELNS0_4arch9wavefront6targetE1EEEvSP_,@function
_ZN7rocprim17ROCPRIM_400000_NS6detail17trampoline_kernelINS0_14default_configENS1_22reduce_config_selectorIiEEZNS1_11reduce_implILb1ES3_N6thrust23THRUST_200600_302600_NS11hip_rocprim35transform_pair_of_input_iterators_tIiNS8_6detail15normal_iteratorINS8_10device_ptrIKcEEEESG_13is_word_startEEPiiNS8_4plusIiEEEE10hipError_tPvRmT1_T2_T3_mT4_P12ihipStream_tbEUlT_E0_NS1_11comp_targetILNS1_3genE3ELNS1_11target_archE908ELNS1_3gpuE7ELNS1_3repE0EEENS1_30default_config_static_selectorELNS0_4arch9wavefront6targetE1EEEvSP_: ; @_ZN7rocprim17ROCPRIM_400000_NS6detail17trampoline_kernelINS0_14default_configENS1_22reduce_config_selectorIiEEZNS1_11reduce_implILb1ES3_N6thrust23THRUST_200600_302600_NS11hip_rocprim35transform_pair_of_input_iterators_tIiNS8_6detail15normal_iteratorINS8_10device_ptrIKcEEEESG_13is_word_startEEPiiNS8_4plusIiEEEE10hipError_tPvRmT1_T2_T3_mT4_P12ihipStream_tbEUlT_E0_NS1_11comp_targetILNS1_3genE3ELNS1_11target_archE908ELNS1_3gpuE7ELNS1_3repE0EEENS1_30default_config_static_selectorELNS0_4arch9wavefront6targetE1EEEvSP_
; %bb.0:
	.section	.rodata,"a",@progbits
	.p2align	6, 0x0
	.amdhsa_kernel _ZN7rocprim17ROCPRIM_400000_NS6detail17trampoline_kernelINS0_14default_configENS1_22reduce_config_selectorIiEEZNS1_11reduce_implILb1ES3_N6thrust23THRUST_200600_302600_NS11hip_rocprim35transform_pair_of_input_iterators_tIiNS8_6detail15normal_iteratorINS8_10device_ptrIKcEEEESG_13is_word_startEEPiiNS8_4plusIiEEEE10hipError_tPvRmT1_T2_T3_mT4_P12ihipStream_tbEUlT_E0_NS1_11comp_targetILNS1_3genE3ELNS1_11target_archE908ELNS1_3gpuE7ELNS1_3repE0EEENS1_30default_config_static_selectorELNS0_4arch9wavefront6targetE1EEEvSP_
		.amdhsa_group_segment_fixed_size 0
		.amdhsa_private_segment_fixed_size 0
		.amdhsa_kernarg_size 72
		.amdhsa_user_sgpr_count 6
		.amdhsa_user_sgpr_private_segment_buffer 1
		.amdhsa_user_sgpr_dispatch_ptr 0
		.amdhsa_user_sgpr_queue_ptr 0
		.amdhsa_user_sgpr_kernarg_segment_ptr 1
		.amdhsa_user_sgpr_dispatch_id 0
		.amdhsa_user_sgpr_flat_scratch_init 0
		.amdhsa_user_sgpr_kernarg_preload_length 0
		.amdhsa_user_sgpr_kernarg_preload_offset 0
		.amdhsa_user_sgpr_private_segment_size 0
		.amdhsa_uses_dynamic_stack 0
		.amdhsa_system_sgpr_private_segment_wavefront_offset 0
		.amdhsa_system_sgpr_workgroup_id_x 1
		.amdhsa_system_sgpr_workgroup_id_y 0
		.amdhsa_system_sgpr_workgroup_id_z 0
		.amdhsa_system_sgpr_workgroup_info 0
		.amdhsa_system_vgpr_workitem_id 0
		.amdhsa_next_free_vgpr 1
		.amdhsa_next_free_sgpr 0
		.amdhsa_accum_offset 4
		.amdhsa_reserve_vcc 0
		.amdhsa_reserve_flat_scratch 0
		.amdhsa_float_round_mode_32 0
		.amdhsa_float_round_mode_16_64 0
		.amdhsa_float_denorm_mode_32 3
		.amdhsa_float_denorm_mode_16_64 3
		.amdhsa_dx10_clamp 1
		.amdhsa_ieee_mode 1
		.amdhsa_fp16_overflow 0
		.amdhsa_tg_split 0
		.amdhsa_exception_fp_ieee_invalid_op 0
		.amdhsa_exception_fp_denorm_src 0
		.amdhsa_exception_fp_ieee_div_zero 0
		.amdhsa_exception_fp_ieee_overflow 0
		.amdhsa_exception_fp_ieee_underflow 0
		.amdhsa_exception_fp_ieee_inexact 0
		.amdhsa_exception_int_div_zero 0
	.end_amdhsa_kernel
	.section	.text._ZN7rocprim17ROCPRIM_400000_NS6detail17trampoline_kernelINS0_14default_configENS1_22reduce_config_selectorIiEEZNS1_11reduce_implILb1ES3_N6thrust23THRUST_200600_302600_NS11hip_rocprim35transform_pair_of_input_iterators_tIiNS8_6detail15normal_iteratorINS8_10device_ptrIKcEEEESG_13is_word_startEEPiiNS8_4plusIiEEEE10hipError_tPvRmT1_T2_T3_mT4_P12ihipStream_tbEUlT_E0_NS1_11comp_targetILNS1_3genE3ELNS1_11target_archE908ELNS1_3gpuE7ELNS1_3repE0EEENS1_30default_config_static_selectorELNS0_4arch9wavefront6targetE1EEEvSP_,"axG",@progbits,_ZN7rocprim17ROCPRIM_400000_NS6detail17trampoline_kernelINS0_14default_configENS1_22reduce_config_selectorIiEEZNS1_11reduce_implILb1ES3_N6thrust23THRUST_200600_302600_NS11hip_rocprim35transform_pair_of_input_iterators_tIiNS8_6detail15normal_iteratorINS8_10device_ptrIKcEEEESG_13is_word_startEEPiiNS8_4plusIiEEEE10hipError_tPvRmT1_T2_T3_mT4_P12ihipStream_tbEUlT_E0_NS1_11comp_targetILNS1_3genE3ELNS1_11target_archE908ELNS1_3gpuE7ELNS1_3repE0EEENS1_30default_config_static_selectorELNS0_4arch9wavefront6targetE1EEEvSP_,comdat
.Lfunc_end21:
	.size	_ZN7rocprim17ROCPRIM_400000_NS6detail17trampoline_kernelINS0_14default_configENS1_22reduce_config_selectorIiEEZNS1_11reduce_implILb1ES3_N6thrust23THRUST_200600_302600_NS11hip_rocprim35transform_pair_of_input_iterators_tIiNS8_6detail15normal_iteratorINS8_10device_ptrIKcEEEESG_13is_word_startEEPiiNS8_4plusIiEEEE10hipError_tPvRmT1_T2_T3_mT4_P12ihipStream_tbEUlT_E0_NS1_11comp_targetILNS1_3genE3ELNS1_11target_archE908ELNS1_3gpuE7ELNS1_3repE0EEENS1_30default_config_static_selectorELNS0_4arch9wavefront6targetE1EEEvSP_, .Lfunc_end21-_ZN7rocprim17ROCPRIM_400000_NS6detail17trampoline_kernelINS0_14default_configENS1_22reduce_config_selectorIiEEZNS1_11reduce_implILb1ES3_N6thrust23THRUST_200600_302600_NS11hip_rocprim35transform_pair_of_input_iterators_tIiNS8_6detail15normal_iteratorINS8_10device_ptrIKcEEEESG_13is_word_startEEPiiNS8_4plusIiEEEE10hipError_tPvRmT1_T2_T3_mT4_P12ihipStream_tbEUlT_E0_NS1_11comp_targetILNS1_3genE3ELNS1_11target_archE908ELNS1_3gpuE7ELNS1_3repE0EEENS1_30default_config_static_selectorELNS0_4arch9wavefront6targetE1EEEvSP_
                                        ; -- End function
	.section	.AMDGPU.csdata,"",@progbits
; Kernel info:
; codeLenInByte = 0
; NumSgprs: 4
; NumVgprs: 0
; NumAgprs: 0
; TotalNumVgprs: 0
; ScratchSize: 0
; MemoryBound: 0
; FloatMode: 240
; IeeeMode: 1
; LDSByteSize: 0 bytes/workgroup (compile time only)
; SGPRBlocks: 0
; VGPRBlocks: 0
; NumSGPRsForWavesPerEU: 4
; NumVGPRsForWavesPerEU: 1
; AccumOffset: 4
; Occupancy: 8
; WaveLimiterHint : 0
; COMPUTE_PGM_RSRC2:SCRATCH_EN: 0
; COMPUTE_PGM_RSRC2:USER_SGPR: 6
; COMPUTE_PGM_RSRC2:TRAP_HANDLER: 0
; COMPUTE_PGM_RSRC2:TGID_X_EN: 1
; COMPUTE_PGM_RSRC2:TGID_Y_EN: 0
; COMPUTE_PGM_RSRC2:TGID_Z_EN: 0
; COMPUTE_PGM_RSRC2:TIDIG_COMP_CNT: 0
; COMPUTE_PGM_RSRC3_GFX90A:ACCUM_OFFSET: 0
; COMPUTE_PGM_RSRC3_GFX90A:TG_SPLIT: 0
	.section	.text._ZN7rocprim17ROCPRIM_400000_NS6detail17trampoline_kernelINS0_14default_configENS1_22reduce_config_selectorIiEEZNS1_11reduce_implILb1ES3_N6thrust23THRUST_200600_302600_NS11hip_rocprim35transform_pair_of_input_iterators_tIiNS8_6detail15normal_iteratorINS8_10device_ptrIKcEEEESG_13is_word_startEEPiiNS8_4plusIiEEEE10hipError_tPvRmT1_T2_T3_mT4_P12ihipStream_tbEUlT_E0_NS1_11comp_targetILNS1_3genE2ELNS1_11target_archE906ELNS1_3gpuE6ELNS1_3repE0EEENS1_30default_config_static_selectorELNS0_4arch9wavefront6targetE1EEEvSP_,"axG",@progbits,_ZN7rocprim17ROCPRIM_400000_NS6detail17trampoline_kernelINS0_14default_configENS1_22reduce_config_selectorIiEEZNS1_11reduce_implILb1ES3_N6thrust23THRUST_200600_302600_NS11hip_rocprim35transform_pair_of_input_iterators_tIiNS8_6detail15normal_iteratorINS8_10device_ptrIKcEEEESG_13is_word_startEEPiiNS8_4plusIiEEEE10hipError_tPvRmT1_T2_T3_mT4_P12ihipStream_tbEUlT_E0_NS1_11comp_targetILNS1_3genE2ELNS1_11target_archE906ELNS1_3gpuE6ELNS1_3repE0EEENS1_30default_config_static_selectorELNS0_4arch9wavefront6targetE1EEEvSP_,comdat
	.protected	_ZN7rocprim17ROCPRIM_400000_NS6detail17trampoline_kernelINS0_14default_configENS1_22reduce_config_selectorIiEEZNS1_11reduce_implILb1ES3_N6thrust23THRUST_200600_302600_NS11hip_rocprim35transform_pair_of_input_iterators_tIiNS8_6detail15normal_iteratorINS8_10device_ptrIKcEEEESG_13is_word_startEEPiiNS8_4plusIiEEEE10hipError_tPvRmT1_T2_T3_mT4_P12ihipStream_tbEUlT_E0_NS1_11comp_targetILNS1_3genE2ELNS1_11target_archE906ELNS1_3gpuE6ELNS1_3repE0EEENS1_30default_config_static_selectorELNS0_4arch9wavefront6targetE1EEEvSP_ ; -- Begin function _ZN7rocprim17ROCPRIM_400000_NS6detail17trampoline_kernelINS0_14default_configENS1_22reduce_config_selectorIiEEZNS1_11reduce_implILb1ES3_N6thrust23THRUST_200600_302600_NS11hip_rocprim35transform_pair_of_input_iterators_tIiNS8_6detail15normal_iteratorINS8_10device_ptrIKcEEEESG_13is_word_startEEPiiNS8_4plusIiEEEE10hipError_tPvRmT1_T2_T3_mT4_P12ihipStream_tbEUlT_E0_NS1_11comp_targetILNS1_3genE2ELNS1_11target_archE906ELNS1_3gpuE6ELNS1_3repE0EEENS1_30default_config_static_selectorELNS0_4arch9wavefront6targetE1EEEvSP_
	.globl	_ZN7rocprim17ROCPRIM_400000_NS6detail17trampoline_kernelINS0_14default_configENS1_22reduce_config_selectorIiEEZNS1_11reduce_implILb1ES3_N6thrust23THRUST_200600_302600_NS11hip_rocprim35transform_pair_of_input_iterators_tIiNS8_6detail15normal_iteratorINS8_10device_ptrIKcEEEESG_13is_word_startEEPiiNS8_4plusIiEEEE10hipError_tPvRmT1_T2_T3_mT4_P12ihipStream_tbEUlT_E0_NS1_11comp_targetILNS1_3genE2ELNS1_11target_archE906ELNS1_3gpuE6ELNS1_3repE0EEENS1_30default_config_static_selectorELNS0_4arch9wavefront6targetE1EEEvSP_
	.p2align	8
	.type	_ZN7rocprim17ROCPRIM_400000_NS6detail17trampoline_kernelINS0_14default_configENS1_22reduce_config_selectorIiEEZNS1_11reduce_implILb1ES3_N6thrust23THRUST_200600_302600_NS11hip_rocprim35transform_pair_of_input_iterators_tIiNS8_6detail15normal_iteratorINS8_10device_ptrIKcEEEESG_13is_word_startEEPiiNS8_4plusIiEEEE10hipError_tPvRmT1_T2_T3_mT4_P12ihipStream_tbEUlT_E0_NS1_11comp_targetILNS1_3genE2ELNS1_11target_archE906ELNS1_3gpuE6ELNS1_3repE0EEENS1_30default_config_static_selectorELNS0_4arch9wavefront6targetE1EEEvSP_,@function
_ZN7rocprim17ROCPRIM_400000_NS6detail17trampoline_kernelINS0_14default_configENS1_22reduce_config_selectorIiEEZNS1_11reduce_implILb1ES3_N6thrust23THRUST_200600_302600_NS11hip_rocprim35transform_pair_of_input_iterators_tIiNS8_6detail15normal_iteratorINS8_10device_ptrIKcEEEESG_13is_word_startEEPiiNS8_4plusIiEEEE10hipError_tPvRmT1_T2_T3_mT4_P12ihipStream_tbEUlT_E0_NS1_11comp_targetILNS1_3genE2ELNS1_11target_archE906ELNS1_3gpuE6ELNS1_3repE0EEENS1_30default_config_static_selectorELNS0_4arch9wavefront6targetE1EEEvSP_: ; @_ZN7rocprim17ROCPRIM_400000_NS6detail17trampoline_kernelINS0_14default_configENS1_22reduce_config_selectorIiEEZNS1_11reduce_implILb1ES3_N6thrust23THRUST_200600_302600_NS11hip_rocprim35transform_pair_of_input_iterators_tIiNS8_6detail15normal_iteratorINS8_10device_ptrIKcEEEESG_13is_word_startEEPiiNS8_4plusIiEEEE10hipError_tPvRmT1_T2_T3_mT4_P12ihipStream_tbEUlT_E0_NS1_11comp_targetILNS1_3genE2ELNS1_11target_archE906ELNS1_3gpuE6ELNS1_3repE0EEENS1_30default_config_static_selectorELNS0_4arch9wavefront6targetE1EEEvSP_
; %bb.0:
	.section	.rodata,"a",@progbits
	.p2align	6, 0x0
	.amdhsa_kernel _ZN7rocprim17ROCPRIM_400000_NS6detail17trampoline_kernelINS0_14default_configENS1_22reduce_config_selectorIiEEZNS1_11reduce_implILb1ES3_N6thrust23THRUST_200600_302600_NS11hip_rocprim35transform_pair_of_input_iterators_tIiNS8_6detail15normal_iteratorINS8_10device_ptrIKcEEEESG_13is_word_startEEPiiNS8_4plusIiEEEE10hipError_tPvRmT1_T2_T3_mT4_P12ihipStream_tbEUlT_E0_NS1_11comp_targetILNS1_3genE2ELNS1_11target_archE906ELNS1_3gpuE6ELNS1_3repE0EEENS1_30default_config_static_selectorELNS0_4arch9wavefront6targetE1EEEvSP_
		.amdhsa_group_segment_fixed_size 0
		.amdhsa_private_segment_fixed_size 0
		.amdhsa_kernarg_size 72
		.amdhsa_user_sgpr_count 6
		.amdhsa_user_sgpr_private_segment_buffer 1
		.amdhsa_user_sgpr_dispatch_ptr 0
		.amdhsa_user_sgpr_queue_ptr 0
		.amdhsa_user_sgpr_kernarg_segment_ptr 1
		.amdhsa_user_sgpr_dispatch_id 0
		.amdhsa_user_sgpr_flat_scratch_init 0
		.amdhsa_user_sgpr_kernarg_preload_length 0
		.amdhsa_user_sgpr_kernarg_preload_offset 0
		.amdhsa_user_sgpr_private_segment_size 0
		.amdhsa_uses_dynamic_stack 0
		.amdhsa_system_sgpr_private_segment_wavefront_offset 0
		.amdhsa_system_sgpr_workgroup_id_x 1
		.amdhsa_system_sgpr_workgroup_id_y 0
		.amdhsa_system_sgpr_workgroup_id_z 0
		.amdhsa_system_sgpr_workgroup_info 0
		.amdhsa_system_vgpr_workitem_id 0
		.amdhsa_next_free_vgpr 1
		.amdhsa_next_free_sgpr 0
		.amdhsa_accum_offset 4
		.amdhsa_reserve_vcc 0
		.amdhsa_reserve_flat_scratch 0
		.amdhsa_float_round_mode_32 0
		.amdhsa_float_round_mode_16_64 0
		.amdhsa_float_denorm_mode_32 3
		.amdhsa_float_denorm_mode_16_64 3
		.amdhsa_dx10_clamp 1
		.amdhsa_ieee_mode 1
		.amdhsa_fp16_overflow 0
		.amdhsa_tg_split 0
		.amdhsa_exception_fp_ieee_invalid_op 0
		.amdhsa_exception_fp_denorm_src 0
		.amdhsa_exception_fp_ieee_div_zero 0
		.amdhsa_exception_fp_ieee_overflow 0
		.amdhsa_exception_fp_ieee_underflow 0
		.amdhsa_exception_fp_ieee_inexact 0
		.amdhsa_exception_int_div_zero 0
	.end_amdhsa_kernel
	.section	.text._ZN7rocprim17ROCPRIM_400000_NS6detail17trampoline_kernelINS0_14default_configENS1_22reduce_config_selectorIiEEZNS1_11reduce_implILb1ES3_N6thrust23THRUST_200600_302600_NS11hip_rocprim35transform_pair_of_input_iterators_tIiNS8_6detail15normal_iteratorINS8_10device_ptrIKcEEEESG_13is_word_startEEPiiNS8_4plusIiEEEE10hipError_tPvRmT1_T2_T3_mT4_P12ihipStream_tbEUlT_E0_NS1_11comp_targetILNS1_3genE2ELNS1_11target_archE906ELNS1_3gpuE6ELNS1_3repE0EEENS1_30default_config_static_selectorELNS0_4arch9wavefront6targetE1EEEvSP_,"axG",@progbits,_ZN7rocprim17ROCPRIM_400000_NS6detail17trampoline_kernelINS0_14default_configENS1_22reduce_config_selectorIiEEZNS1_11reduce_implILb1ES3_N6thrust23THRUST_200600_302600_NS11hip_rocprim35transform_pair_of_input_iterators_tIiNS8_6detail15normal_iteratorINS8_10device_ptrIKcEEEESG_13is_word_startEEPiiNS8_4plusIiEEEE10hipError_tPvRmT1_T2_T3_mT4_P12ihipStream_tbEUlT_E0_NS1_11comp_targetILNS1_3genE2ELNS1_11target_archE906ELNS1_3gpuE6ELNS1_3repE0EEENS1_30default_config_static_selectorELNS0_4arch9wavefront6targetE1EEEvSP_,comdat
.Lfunc_end22:
	.size	_ZN7rocprim17ROCPRIM_400000_NS6detail17trampoline_kernelINS0_14default_configENS1_22reduce_config_selectorIiEEZNS1_11reduce_implILb1ES3_N6thrust23THRUST_200600_302600_NS11hip_rocprim35transform_pair_of_input_iterators_tIiNS8_6detail15normal_iteratorINS8_10device_ptrIKcEEEESG_13is_word_startEEPiiNS8_4plusIiEEEE10hipError_tPvRmT1_T2_T3_mT4_P12ihipStream_tbEUlT_E0_NS1_11comp_targetILNS1_3genE2ELNS1_11target_archE906ELNS1_3gpuE6ELNS1_3repE0EEENS1_30default_config_static_selectorELNS0_4arch9wavefront6targetE1EEEvSP_, .Lfunc_end22-_ZN7rocprim17ROCPRIM_400000_NS6detail17trampoline_kernelINS0_14default_configENS1_22reduce_config_selectorIiEEZNS1_11reduce_implILb1ES3_N6thrust23THRUST_200600_302600_NS11hip_rocprim35transform_pair_of_input_iterators_tIiNS8_6detail15normal_iteratorINS8_10device_ptrIKcEEEESG_13is_word_startEEPiiNS8_4plusIiEEEE10hipError_tPvRmT1_T2_T3_mT4_P12ihipStream_tbEUlT_E0_NS1_11comp_targetILNS1_3genE2ELNS1_11target_archE906ELNS1_3gpuE6ELNS1_3repE0EEENS1_30default_config_static_selectorELNS0_4arch9wavefront6targetE1EEEvSP_
                                        ; -- End function
	.section	.AMDGPU.csdata,"",@progbits
; Kernel info:
; codeLenInByte = 0
; NumSgprs: 4
; NumVgprs: 0
; NumAgprs: 0
; TotalNumVgprs: 0
; ScratchSize: 0
; MemoryBound: 0
; FloatMode: 240
; IeeeMode: 1
; LDSByteSize: 0 bytes/workgroup (compile time only)
; SGPRBlocks: 0
; VGPRBlocks: 0
; NumSGPRsForWavesPerEU: 4
; NumVGPRsForWavesPerEU: 1
; AccumOffset: 4
; Occupancy: 8
; WaveLimiterHint : 0
; COMPUTE_PGM_RSRC2:SCRATCH_EN: 0
; COMPUTE_PGM_RSRC2:USER_SGPR: 6
; COMPUTE_PGM_RSRC2:TRAP_HANDLER: 0
; COMPUTE_PGM_RSRC2:TGID_X_EN: 1
; COMPUTE_PGM_RSRC2:TGID_Y_EN: 0
; COMPUTE_PGM_RSRC2:TGID_Z_EN: 0
; COMPUTE_PGM_RSRC2:TIDIG_COMP_CNT: 0
; COMPUTE_PGM_RSRC3_GFX90A:ACCUM_OFFSET: 0
; COMPUTE_PGM_RSRC3_GFX90A:TG_SPLIT: 0
	.section	.text._ZN7rocprim17ROCPRIM_400000_NS6detail17trampoline_kernelINS0_14default_configENS1_22reduce_config_selectorIiEEZNS1_11reduce_implILb1ES3_N6thrust23THRUST_200600_302600_NS11hip_rocprim35transform_pair_of_input_iterators_tIiNS8_6detail15normal_iteratorINS8_10device_ptrIKcEEEESG_13is_word_startEEPiiNS8_4plusIiEEEE10hipError_tPvRmT1_T2_T3_mT4_P12ihipStream_tbEUlT_E0_NS1_11comp_targetILNS1_3genE10ELNS1_11target_archE1201ELNS1_3gpuE5ELNS1_3repE0EEENS1_30default_config_static_selectorELNS0_4arch9wavefront6targetE1EEEvSP_,"axG",@progbits,_ZN7rocprim17ROCPRIM_400000_NS6detail17trampoline_kernelINS0_14default_configENS1_22reduce_config_selectorIiEEZNS1_11reduce_implILb1ES3_N6thrust23THRUST_200600_302600_NS11hip_rocprim35transform_pair_of_input_iterators_tIiNS8_6detail15normal_iteratorINS8_10device_ptrIKcEEEESG_13is_word_startEEPiiNS8_4plusIiEEEE10hipError_tPvRmT1_T2_T3_mT4_P12ihipStream_tbEUlT_E0_NS1_11comp_targetILNS1_3genE10ELNS1_11target_archE1201ELNS1_3gpuE5ELNS1_3repE0EEENS1_30default_config_static_selectorELNS0_4arch9wavefront6targetE1EEEvSP_,comdat
	.protected	_ZN7rocprim17ROCPRIM_400000_NS6detail17trampoline_kernelINS0_14default_configENS1_22reduce_config_selectorIiEEZNS1_11reduce_implILb1ES3_N6thrust23THRUST_200600_302600_NS11hip_rocprim35transform_pair_of_input_iterators_tIiNS8_6detail15normal_iteratorINS8_10device_ptrIKcEEEESG_13is_word_startEEPiiNS8_4plusIiEEEE10hipError_tPvRmT1_T2_T3_mT4_P12ihipStream_tbEUlT_E0_NS1_11comp_targetILNS1_3genE10ELNS1_11target_archE1201ELNS1_3gpuE5ELNS1_3repE0EEENS1_30default_config_static_selectorELNS0_4arch9wavefront6targetE1EEEvSP_ ; -- Begin function _ZN7rocprim17ROCPRIM_400000_NS6detail17trampoline_kernelINS0_14default_configENS1_22reduce_config_selectorIiEEZNS1_11reduce_implILb1ES3_N6thrust23THRUST_200600_302600_NS11hip_rocprim35transform_pair_of_input_iterators_tIiNS8_6detail15normal_iteratorINS8_10device_ptrIKcEEEESG_13is_word_startEEPiiNS8_4plusIiEEEE10hipError_tPvRmT1_T2_T3_mT4_P12ihipStream_tbEUlT_E0_NS1_11comp_targetILNS1_3genE10ELNS1_11target_archE1201ELNS1_3gpuE5ELNS1_3repE0EEENS1_30default_config_static_selectorELNS0_4arch9wavefront6targetE1EEEvSP_
	.globl	_ZN7rocprim17ROCPRIM_400000_NS6detail17trampoline_kernelINS0_14default_configENS1_22reduce_config_selectorIiEEZNS1_11reduce_implILb1ES3_N6thrust23THRUST_200600_302600_NS11hip_rocprim35transform_pair_of_input_iterators_tIiNS8_6detail15normal_iteratorINS8_10device_ptrIKcEEEESG_13is_word_startEEPiiNS8_4plusIiEEEE10hipError_tPvRmT1_T2_T3_mT4_P12ihipStream_tbEUlT_E0_NS1_11comp_targetILNS1_3genE10ELNS1_11target_archE1201ELNS1_3gpuE5ELNS1_3repE0EEENS1_30default_config_static_selectorELNS0_4arch9wavefront6targetE1EEEvSP_
	.p2align	8
	.type	_ZN7rocprim17ROCPRIM_400000_NS6detail17trampoline_kernelINS0_14default_configENS1_22reduce_config_selectorIiEEZNS1_11reduce_implILb1ES3_N6thrust23THRUST_200600_302600_NS11hip_rocprim35transform_pair_of_input_iterators_tIiNS8_6detail15normal_iteratorINS8_10device_ptrIKcEEEESG_13is_word_startEEPiiNS8_4plusIiEEEE10hipError_tPvRmT1_T2_T3_mT4_P12ihipStream_tbEUlT_E0_NS1_11comp_targetILNS1_3genE10ELNS1_11target_archE1201ELNS1_3gpuE5ELNS1_3repE0EEENS1_30default_config_static_selectorELNS0_4arch9wavefront6targetE1EEEvSP_,@function
_ZN7rocprim17ROCPRIM_400000_NS6detail17trampoline_kernelINS0_14default_configENS1_22reduce_config_selectorIiEEZNS1_11reduce_implILb1ES3_N6thrust23THRUST_200600_302600_NS11hip_rocprim35transform_pair_of_input_iterators_tIiNS8_6detail15normal_iteratorINS8_10device_ptrIKcEEEESG_13is_word_startEEPiiNS8_4plusIiEEEE10hipError_tPvRmT1_T2_T3_mT4_P12ihipStream_tbEUlT_E0_NS1_11comp_targetILNS1_3genE10ELNS1_11target_archE1201ELNS1_3gpuE5ELNS1_3repE0EEENS1_30default_config_static_selectorELNS0_4arch9wavefront6targetE1EEEvSP_: ; @_ZN7rocprim17ROCPRIM_400000_NS6detail17trampoline_kernelINS0_14default_configENS1_22reduce_config_selectorIiEEZNS1_11reduce_implILb1ES3_N6thrust23THRUST_200600_302600_NS11hip_rocprim35transform_pair_of_input_iterators_tIiNS8_6detail15normal_iteratorINS8_10device_ptrIKcEEEESG_13is_word_startEEPiiNS8_4plusIiEEEE10hipError_tPvRmT1_T2_T3_mT4_P12ihipStream_tbEUlT_E0_NS1_11comp_targetILNS1_3genE10ELNS1_11target_archE1201ELNS1_3gpuE5ELNS1_3repE0EEENS1_30default_config_static_selectorELNS0_4arch9wavefront6targetE1EEEvSP_
; %bb.0:
	.section	.rodata,"a",@progbits
	.p2align	6, 0x0
	.amdhsa_kernel _ZN7rocprim17ROCPRIM_400000_NS6detail17trampoline_kernelINS0_14default_configENS1_22reduce_config_selectorIiEEZNS1_11reduce_implILb1ES3_N6thrust23THRUST_200600_302600_NS11hip_rocprim35transform_pair_of_input_iterators_tIiNS8_6detail15normal_iteratorINS8_10device_ptrIKcEEEESG_13is_word_startEEPiiNS8_4plusIiEEEE10hipError_tPvRmT1_T2_T3_mT4_P12ihipStream_tbEUlT_E0_NS1_11comp_targetILNS1_3genE10ELNS1_11target_archE1201ELNS1_3gpuE5ELNS1_3repE0EEENS1_30default_config_static_selectorELNS0_4arch9wavefront6targetE1EEEvSP_
		.amdhsa_group_segment_fixed_size 0
		.amdhsa_private_segment_fixed_size 0
		.amdhsa_kernarg_size 72
		.amdhsa_user_sgpr_count 6
		.amdhsa_user_sgpr_private_segment_buffer 1
		.amdhsa_user_sgpr_dispatch_ptr 0
		.amdhsa_user_sgpr_queue_ptr 0
		.amdhsa_user_sgpr_kernarg_segment_ptr 1
		.amdhsa_user_sgpr_dispatch_id 0
		.amdhsa_user_sgpr_flat_scratch_init 0
		.amdhsa_user_sgpr_kernarg_preload_length 0
		.amdhsa_user_sgpr_kernarg_preload_offset 0
		.amdhsa_user_sgpr_private_segment_size 0
		.amdhsa_uses_dynamic_stack 0
		.amdhsa_system_sgpr_private_segment_wavefront_offset 0
		.amdhsa_system_sgpr_workgroup_id_x 1
		.amdhsa_system_sgpr_workgroup_id_y 0
		.amdhsa_system_sgpr_workgroup_id_z 0
		.amdhsa_system_sgpr_workgroup_info 0
		.amdhsa_system_vgpr_workitem_id 0
		.amdhsa_next_free_vgpr 1
		.amdhsa_next_free_sgpr 0
		.amdhsa_accum_offset 4
		.amdhsa_reserve_vcc 0
		.amdhsa_reserve_flat_scratch 0
		.amdhsa_float_round_mode_32 0
		.amdhsa_float_round_mode_16_64 0
		.amdhsa_float_denorm_mode_32 3
		.amdhsa_float_denorm_mode_16_64 3
		.amdhsa_dx10_clamp 1
		.amdhsa_ieee_mode 1
		.amdhsa_fp16_overflow 0
		.amdhsa_tg_split 0
		.amdhsa_exception_fp_ieee_invalid_op 0
		.amdhsa_exception_fp_denorm_src 0
		.amdhsa_exception_fp_ieee_div_zero 0
		.amdhsa_exception_fp_ieee_overflow 0
		.amdhsa_exception_fp_ieee_underflow 0
		.amdhsa_exception_fp_ieee_inexact 0
		.amdhsa_exception_int_div_zero 0
	.end_amdhsa_kernel
	.section	.text._ZN7rocprim17ROCPRIM_400000_NS6detail17trampoline_kernelINS0_14default_configENS1_22reduce_config_selectorIiEEZNS1_11reduce_implILb1ES3_N6thrust23THRUST_200600_302600_NS11hip_rocprim35transform_pair_of_input_iterators_tIiNS8_6detail15normal_iteratorINS8_10device_ptrIKcEEEESG_13is_word_startEEPiiNS8_4plusIiEEEE10hipError_tPvRmT1_T2_T3_mT4_P12ihipStream_tbEUlT_E0_NS1_11comp_targetILNS1_3genE10ELNS1_11target_archE1201ELNS1_3gpuE5ELNS1_3repE0EEENS1_30default_config_static_selectorELNS0_4arch9wavefront6targetE1EEEvSP_,"axG",@progbits,_ZN7rocprim17ROCPRIM_400000_NS6detail17trampoline_kernelINS0_14default_configENS1_22reduce_config_selectorIiEEZNS1_11reduce_implILb1ES3_N6thrust23THRUST_200600_302600_NS11hip_rocprim35transform_pair_of_input_iterators_tIiNS8_6detail15normal_iteratorINS8_10device_ptrIKcEEEESG_13is_word_startEEPiiNS8_4plusIiEEEE10hipError_tPvRmT1_T2_T3_mT4_P12ihipStream_tbEUlT_E0_NS1_11comp_targetILNS1_3genE10ELNS1_11target_archE1201ELNS1_3gpuE5ELNS1_3repE0EEENS1_30default_config_static_selectorELNS0_4arch9wavefront6targetE1EEEvSP_,comdat
.Lfunc_end23:
	.size	_ZN7rocprim17ROCPRIM_400000_NS6detail17trampoline_kernelINS0_14default_configENS1_22reduce_config_selectorIiEEZNS1_11reduce_implILb1ES3_N6thrust23THRUST_200600_302600_NS11hip_rocprim35transform_pair_of_input_iterators_tIiNS8_6detail15normal_iteratorINS8_10device_ptrIKcEEEESG_13is_word_startEEPiiNS8_4plusIiEEEE10hipError_tPvRmT1_T2_T3_mT4_P12ihipStream_tbEUlT_E0_NS1_11comp_targetILNS1_3genE10ELNS1_11target_archE1201ELNS1_3gpuE5ELNS1_3repE0EEENS1_30default_config_static_selectorELNS0_4arch9wavefront6targetE1EEEvSP_, .Lfunc_end23-_ZN7rocprim17ROCPRIM_400000_NS6detail17trampoline_kernelINS0_14default_configENS1_22reduce_config_selectorIiEEZNS1_11reduce_implILb1ES3_N6thrust23THRUST_200600_302600_NS11hip_rocprim35transform_pair_of_input_iterators_tIiNS8_6detail15normal_iteratorINS8_10device_ptrIKcEEEESG_13is_word_startEEPiiNS8_4plusIiEEEE10hipError_tPvRmT1_T2_T3_mT4_P12ihipStream_tbEUlT_E0_NS1_11comp_targetILNS1_3genE10ELNS1_11target_archE1201ELNS1_3gpuE5ELNS1_3repE0EEENS1_30default_config_static_selectorELNS0_4arch9wavefront6targetE1EEEvSP_
                                        ; -- End function
	.section	.AMDGPU.csdata,"",@progbits
; Kernel info:
; codeLenInByte = 0
; NumSgprs: 4
; NumVgprs: 0
; NumAgprs: 0
; TotalNumVgprs: 0
; ScratchSize: 0
; MemoryBound: 0
; FloatMode: 240
; IeeeMode: 1
; LDSByteSize: 0 bytes/workgroup (compile time only)
; SGPRBlocks: 0
; VGPRBlocks: 0
; NumSGPRsForWavesPerEU: 4
; NumVGPRsForWavesPerEU: 1
; AccumOffset: 4
; Occupancy: 8
; WaveLimiterHint : 0
; COMPUTE_PGM_RSRC2:SCRATCH_EN: 0
; COMPUTE_PGM_RSRC2:USER_SGPR: 6
; COMPUTE_PGM_RSRC2:TRAP_HANDLER: 0
; COMPUTE_PGM_RSRC2:TGID_X_EN: 1
; COMPUTE_PGM_RSRC2:TGID_Y_EN: 0
; COMPUTE_PGM_RSRC2:TGID_Z_EN: 0
; COMPUTE_PGM_RSRC2:TIDIG_COMP_CNT: 0
; COMPUTE_PGM_RSRC3_GFX90A:ACCUM_OFFSET: 0
; COMPUTE_PGM_RSRC3_GFX90A:TG_SPLIT: 0
	.section	.text._ZN7rocprim17ROCPRIM_400000_NS6detail17trampoline_kernelINS0_14default_configENS1_22reduce_config_selectorIiEEZNS1_11reduce_implILb1ES3_N6thrust23THRUST_200600_302600_NS11hip_rocprim35transform_pair_of_input_iterators_tIiNS8_6detail15normal_iteratorINS8_10device_ptrIKcEEEESG_13is_word_startEEPiiNS8_4plusIiEEEE10hipError_tPvRmT1_T2_T3_mT4_P12ihipStream_tbEUlT_E0_NS1_11comp_targetILNS1_3genE10ELNS1_11target_archE1200ELNS1_3gpuE4ELNS1_3repE0EEENS1_30default_config_static_selectorELNS0_4arch9wavefront6targetE1EEEvSP_,"axG",@progbits,_ZN7rocprim17ROCPRIM_400000_NS6detail17trampoline_kernelINS0_14default_configENS1_22reduce_config_selectorIiEEZNS1_11reduce_implILb1ES3_N6thrust23THRUST_200600_302600_NS11hip_rocprim35transform_pair_of_input_iterators_tIiNS8_6detail15normal_iteratorINS8_10device_ptrIKcEEEESG_13is_word_startEEPiiNS8_4plusIiEEEE10hipError_tPvRmT1_T2_T3_mT4_P12ihipStream_tbEUlT_E0_NS1_11comp_targetILNS1_3genE10ELNS1_11target_archE1200ELNS1_3gpuE4ELNS1_3repE0EEENS1_30default_config_static_selectorELNS0_4arch9wavefront6targetE1EEEvSP_,comdat
	.protected	_ZN7rocprim17ROCPRIM_400000_NS6detail17trampoline_kernelINS0_14default_configENS1_22reduce_config_selectorIiEEZNS1_11reduce_implILb1ES3_N6thrust23THRUST_200600_302600_NS11hip_rocprim35transform_pair_of_input_iterators_tIiNS8_6detail15normal_iteratorINS8_10device_ptrIKcEEEESG_13is_word_startEEPiiNS8_4plusIiEEEE10hipError_tPvRmT1_T2_T3_mT4_P12ihipStream_tbEUlT_E0_NS1_11comp_targetILNS1_3genE10ELNS1_11target_archE1200ELNS1_3gpuE4ELNS1_3repE0EEENS1_30default_config_static_selectorELNS0_4arch9wavefront6targetE1EEEvSP_ ; -- Begin function _ZN7rocprim17ROCPRIM_400000_NS6detail17trampoline_kernelINS0_14default_configENS1_22reduce_config_selectorIiEEZNS1_11reduce_implILb1ES3_N6thrust23THRUST_200600_302600_NS11hip_rocprim35transform_pair_of_input_iterators_tIiNS8_6detail15normal_iteratorINS8_10device_ptrIKcEEEESG_13is_word_startEEPiiNS8_4plusIiEEEE10hipError_tPvRmT1_T2_T3_mT4_P12ihipStream_tbEUlT_E0_NS1_11comp_targetILNS1_3genE10ELNS1_11target_archE1200ELNS1_3gpuE4ELNS1_3repE0EEENS1_30default_config_static_selectorELNS0_4arch9wavefront6targetE1EEEvSP_
	.globl	_ZN7rocprim17ROCPRIM_400000_NS6detail17trampoline_kernelINS0_14default_configENS1_22reduce_config_selectorIiEEZNS1_11reduce_implILb1ES3_N6thrust23THRUST_200600_302600_NS11hip_rocprim35transform_pair_of_input_iterators_tIiNS8_6detail15normal_iteratorINS8_10device_ptrIKcEEEESG_13is_word_startEEPiiNS8_4plusIiEEEE10hipError_tPvRmT1_T2_T3_mT4_P12ihipStream_tbEUlT_E0_NS1_11comp_targetILNS1_3genE10ELNS1_11target_archE1200ELNS1_3gpuE4ELNS1_3repE0EEENS1_30default_config_static_selectorELNS0_4arch9wavefront6targetE1EEEvSP_
	.p2align	8
	.type	_ZN7rocprim17ROCPRIM_400000_NS6detail17trampoline_kernelINS0_14default_configENS1_22reduce_config_selectorIiEEZNS1_11reduce_implILb1ES3_N6thrust23THRUST_200600_302600_NS11hip_rocprim35transform_pair_of_input_iterators_tIiNS8_6detail15normal_iteratorINS8_10device_ptrIKcEEEESG_13is_word_startEEPiiNS8_4plusIiEEEE10hipError_tPvRmT1_T2_T3_mT4_P12ihipStream_tbEUlT_E0_NS1_11comp_targetILNS1_3genE10ELNS1_11target_archE1200ELNS1_3gpuE4ELNS1_3repE0EEENS1_30default_config_static_selectorELNS0_4arch9wavefront6targetE1EEEvSP_,@function
_ZN7rocprim17ROCPRIM_400000_NS6detail17trampoline_kernelINS0_14default_configENS1_22reduce_config_selectorIiEEZNS1_11reduce_implILb1ES3_N6thrust23THRUST_200600_302600_NS11hip_rocprim35transform_pair_of_input_iterators_tIiNS8_6detail15normal_iteratorINS8_10device_ptrIKcEEEESG_13is_word_startEEPiiNS8_4plusIiEEEE10hipError_tPvRmT1_T2_T3_mT4_P12ihipStream_tbEUlT_E0_NS1_11comp_targetILNS1_3genE10ELNS1_11target_archE1200ELNS1_3gpuE4ELNS1_3repE0EEENS1_30default_config_static_selectorELNS0_4arch9wavefront6targetE1EEEvSP_: ; @_ZN7rocprim17ROCPRIM_400000_NS6detail17trampoline_kernelINS0_14default_configENS1_22reduce_config_selectorIiEEZNS1_11reduce_implILb1ES3_N6thrust23THRUST_200600_302600_NS11hip_rocprim35transform_pair_of_input_iterators_tIiNS8_6detail15normal_iteratorINS8_10device_ptrIKcEEEESG_13is_word_startEEPiiNS8_4plusIiEEEE10hipError_tPvRmT1_T2_T3_mT4_P12ihipStream_tbEUlT_E0_NS1_11comp_targetILNS1_3genE10ELNS1_11target_archE1200ELNS1_3gpuE4ELNS1_3repE0EEENS1_30default_config_static_selectorELNS0_4arch9wavefront6targetE1EEEvSP_
; %bb.0:
	.section	.rodata,"a",@progbits
	.p2align	6, 0x0
	.amdhsa_kernel _ZN7rocprim17ROCPRIM_400000_NS6detail17trampoline_kernelINS0_14default_configENS1_22reduce_config_selectorIiEEZNS1_11reduce_implILb1ES3_N6thrust23THRUST_200600_302600_NS11hip_rocprim35transform_pair_of_input_iterators_tIiNS8_6detail15normal_iteratorINS8_10device_ptrIKcEEEESG_13is_word_startEEPiiNS8_4plusIiEEEE10hipError_tPvRmT1_T2_T3_mT4_P12ihipStream_tbEUlT_E0_NS1_11comp_targetILNS1_3genE10ELNS1_11target_archE1200ELNS1_3gpuE4ELNS1_3repE0EEENS1_30default_config_static_selectorELNS0_4arch9wavefront6targetE1EEEvSP_
		.amdhsa_group_segment_fixed_size 0
		.amdhsa_private_segment_fixed_size 0
		.amdhsa_kernarg_size 72
		.amdhsa_user_sgpr_count 6
		.amdhsa_user_sgpr_private_segment_buffer 1
		.amdhsa_user_sgpr_dispatch_ptr 0
		.amdhsa_user_sgpr_queue_ptr 0
		.amdhsa_user_sgpr_kernarg_segment_ptr 1
		.amdhsa_user_sgpr_dispatch_id 0
		.amdhsa_user_sgpr_flat_scratch_init 0
		.amdhsa_user_sgpr_kernarg_preload_length 0
		.amdhsa_user_sgpr_kernarg_preload_offset 0
		.amdhsa_user_sgpr_private_segment_size 0
		.amdhsa_uses_dynamic_stack 0
		.amdhsa_system_sgpr_private_segment_wavefront_offset 0
		.amdhsa_system_sgpr_workgroup_id_x 1
		.amdhsa_system_sgpr_workgroup_id_y 0
		.amdhsa_system_sgpr_workgroup_id_z 0
		.amdhsa_system_sgpr_workgroup_info 0
		.amdhsa_system_vgpr_workitem_id 0
		.amdhsa_next_free_vgpr 1
		.amdhsa_next_free_sgpr 0
		.amdhsa_accum_offset 4
		.amdhsa_reserve_vcc 0
		.amdhsa_reserve_flat_scratch 0
		.amdhsa_float_round_mode_32 0
		.amdhsa_float_round_mode_16_64 0
		.amdhsa_float_denorm_mode_32 3
		.amdhsa_float_denorm_mode_16_64 3
		.amdhsa_dx10_clamp 1
		.amdhsa_ieee_mode 1
		.amdhsa_fp16_overflow 0
		.amdhsa_tg_split 0
		.amdhsa_exception_fp_ieee_invalid_op 0
		.amdhsa_exception_fp_denorm_src 0
		.amdhsa_exception_fp_ieee_div_zero 0
		.amdhsa_exception_fp_ieee_overflow 0
		.amdhsa_exception_fp_ieee_underflow 0
		.amdhsa_exception_fp_ieee_inexact 0
		.amdhsa_exception_int_div_zero 0
	.end_amdhsa_kernel
	.section	.text._ZN7rocprim17ROCPRIM_400000_NS6detail17trampoline_kernelINS0_14default_configENS1_22reduce_config_selectorIiEEZNS1_11reduce_implILb1ES3_N6thrust23THRUST_200600_302600_NS11hip_rocprim35transform_pair_of_input_iterators_tIiNS8_6detail15normal_iteratorINS8_10device_ptrIKcEEEESG_13is_word_startEEPiiNS8_4plusIiEEEE10hipError_tPvRmT1_T2_T3_mT4_P12ihipStream_tbEUlT_E0_NS1_11comp_targetILNS1_3genE10ELNS1_11target_archE1200ELNS1_3gpuE4ELNS1_3repE0EEENS1_30default_config_static_selectorELNS0_4arch9wavefront6targetE1EEEvSP_,"axG",@progbits,_ZN7rocprim17ROCPRIM_400000_NS6detail17trampoline_kernelINS0_14default_configENS1_22reduce_config_selectorIiEEZNS1_11reduce_implILb1ES3_N6thrust23THRUST_200600_302600_NS11hip_rocprim35transform_pair_of_input_iterators_tIiNS8_6detail15normal_iteratorINS8_10device_ptrIKcEEEESG_13is_word_startEEPiiNS8_4plusIiEEEE10hipError_tPvRmT1_T2_T3_mT4_P12ihipStream_tbEUlT_E0_NS1_11comp_targetILNS1_3genE10ELNS1_11target_archE1200ELNS1_3gpuE4ELNS1_3repE0EEENS1_30default_config_static_selectorELNS0_4arch9wavefront6targetE1EEEvSP_,comdat
.Lfunc_end24:
	.size	_ZN7rocprim17ROCPRIM_400000_NS6detail17trampoline_kernelINS0_14default_configENS1_22reduce_config_selectorIiEEZNS1_11reduce_implILb1ES3_N6thrust23THRUST_200600_302600_NS11hip_rocprim35transform_pair_of_input_iterators_tIiNS8_6detail15normal_iteratorINS8_10device_ptrIKcEEEESG_13is_word_startEEPiiNS8_4plusIiEEEE10hipError_tPvRmT1_T2_T3_mT4_P12ihipStream_tbEUlT_E0_NS1_11comp_targetILNS1_3genE10ELNS1_11target_archE1200ELNS1_3gpuE4ELNS1_3repE0EEENS1_30default_config_static_selectorELNS0_4arch9wavefront6targetE1EEEvSP_, .Lfunc_end24-_ZN7rocprim17ROCPRIM_400000_NS6detail17trampoline_kernelINS0_14default_configENS1_22reduce_config_selectorIiEEZNS1_11reduce_implILb1ES3_N6thrust23THRUST_200600_302600_NS11hip_rocprim35transform_pair_of_input_iterators_tIiNS8_6detail15normal_iteratorINS8_10device_ptrIKcEEEESG_13is_word_startEEPiiNS8_4plusIiEEEE10hipError_tPvRmT1_T2_T3_mT4_P12ihipStream_tbEUlT_E0_NS1_11comp_targetILNS1_3genE10ELNS1_11target_archE1200ELNS1_3gpuE4ELNS1_3repE0EEENS1_30default_config_static_selectorELNS0_4arch9wavefront6targetE1EEEvSP_
                                        ; -- End function
	.section	.AMDGPU.csdata,"",@progbits
; Kernel info:
; codeLenInByte = 0
; NumSgprs: 4
; NumVgprs: 0
; NumAgprs: 0
; TotalNumVgprs: 0
; ScratchSize: 0
; MemoryBound: 0
; FloatMode: 240
; IeeeMode: 1
; LDSByteSize: 0 bytes/workgroup (compile time only)
; SGPRBlocks: 0
; VGPRBlocks: 0
; NumSGPRsForWavesPerEU: 4
; NumVGPRsForWavesPerEU: 1
; AccumOffset: 4
; Occupancy: 8
; WaveLimiterHint : 0
; COMPUTE_PGM_RSRC2:SCRATCH_EN: 0
; COMPUTE_PGM_RSRC2:USER_SGPR: 6
; COMPUTE_PGM_RSRC2:TRAP_HANDLER: 0
; COMPUTE_PGM_RSRC2:TGID_X_EN: 1
; COMPUTE_PGM_RSRC2:TGID_Y_EN: 0
; COMPUTE_PGM_RSRC2:TGID_Z_EN: 0
; COMPUTE_PGM_RSRC2:TIDIG_COMP_CNT: 0
; COMPUTE_PGM_RSRC3_GFX90A:ACCUM_OFFSET: 0
; COMPUTE_PGM_RSRC3_GFX90A:TG_SPLIT: 0
	.section	.text._ZN7rocprim17ROCPRIM_400000_NS6detail17trampoline_kernelINS0_14default_configENS1_22reduce_config_selectorIiEEZNS1_11reduce_implILb1ES3_N6thrust23THRUST_200600_302600_NS11hip_rocprim35transform_pair_of_input_iterators_tIiNS8_6detail15normal_iteratorINS8_10device_ptrIKcEEEESG_13is_word_startEEPiiNS8_4plusIiEEEE10hipError_tPvRmT1_T2_T3_mT4_P12ihipStream_tbEUlT_E0_NS1_11comp_targetILNS1_3genE9ELNS1_11target_archE1100ELNS1_3gpuE3ELNS1_3repE0EEENS1_30default_config_static_selectorELNS0_4arch9wavefront6targetE1EEEvSP_,"axG",@progbits,_ZN7rocprim17ROCPRIM_400000_NS6detail17trampoline_kernelINS0_14default_configENS1_22reduce_config_selectorIiEEZNS1_11reduce_implILb1ES3_N6thrust23THRUST_200600_302600_NS11hip_rocprim35transform_pair_of_input_iterators_tIiNS8_6detail15normal_iteratorINS8_10device_ptrIKcEEEESG_13is_word_startEEPiiNS8_4plusIiEEEE10hipError_tPvRmT1_T2_T3_mT4_P12ihipStream_tbEUlT_E0_NS1_11comp_targetILNS1_3genE9ELNS1_11target_archE1100ELNS1_3gpuE3ELNS1_3repE0EEENS1_30default_config_static_selectorELNS0_4arch9wavefront6targetE1EEEvSP_,comdat
	.protected	_ZN7rocprim17ROCPRIM_400000_NS6detail17trampoline_kernelINS0_14default_configENS1_22reduce_config_selectorIiEEZNS1_11reduce_implILb1ES3_N6thrust23THRUST_200600_302600_NS11hip_rocprim35transform_pair_of_input_iterators_tIiNS8_6detail15normal_iteratorINS8_10device_ptrIKcEEEESG_13is_word_startEEPiiNS8_4plusIiEEEE10hipError_tPvRmT1_T2_T3_mT4_P12ihipStream_tbEUlT_E0_NS1_11comp_targetILNS1_3genE9ELNS1_11target_archE1100ELNS1_3gpuE3ELNS1_3repE0EEENS1_30default_config_static_selectorELNS0_4arch9wavefront6targetE1EEEvSP_ ; -- Begin function _ZN7rocprim17ROCPRIM_400000_NS6detail17trampoline_kernelINS0_14default_configENS1_22reduce_config_selectorIiEEZNS1_11reduce_implILb1ES3_N6thrust23THRUST_200600_302600_NS11hip_rocprim35transform_pair_of_input_iterators_tIiNS8_6detail15normal_iteratorINS8_10device_ptrIKcEEEESG_13is_word_startEEPiiNS8_4plusIiEEEE10hipError_tPvRmT1_T2_T3_mT4_P12ihipStream_tbEUlT_E0_NS1_11comp_targetILNS1_3genE9ELNS1_11target_archE1100ELNS1_3gpuE3ELNS1_3repE0EEENS1_30default_config_static_selectorELNS0_4arch9wavefront6targetE1EEEvSP_
	.globl	_ZN7rocprim17ROCPRIM_400000_NS6detail17trampoline_kernelINS0_14default_configENS1_22reduce_config_selectorIiEEZNS1_11reduce_implILb1ES3_N6thrust23THRUST_200600_302600_NS11hip_rocprim35transform_pair_of_input_iterators_tIiNS8_6detail15normal_iteratorINS8_10device_ptrIKcEEEESG_13is_word_startEEPiiNS8_4plusIiEEEE10hipError_tPvRmT1_T2_T3_mT4_P12ihipStream_tbEUlT_E0_NS1_11comp_targetILNS1_3genE9ELNS1_11target_archE1100ELNS1_3gpuE3ELNS1_3repE0EEENS1_30default_config_static_selectorELNS0_4arch9wavefront6targetE1EEEvSP_
	.p2align	8
	.type	_ZN7rocprim17ROCPRIM_400000_NS6detail17trampoline_kernelINS0_14default_configENS1_22reduce_config_selectorIiEEZNS1_11reduce_implILb1ES3_N6thrust23THRUST_200600_302600_NS11hip_rocprim35transform_pair_of_input_iterators_tIiNS8_6detail15normal_iteratorINS8_10device_ptrIKcEEEESG_13is_word_startEEPiiNS8_4plusIiEEEE10hipError_tPvRmT1_T2_T3_mT4_P12ihipStream_tbEUlT_E0_NS1_11comp_targetILNS1_3genE9ELNS1_11target_archE1100ELNS1_3gpuE3ELNS1_3repE0EEENS1_30default_config_static_selectorELNS0_4arch9wavefront6targetE1EEEvSP_,@function
_ZN7rocprim17ROCPRIM_400000_NS6detail17trampoline_kernelINS0_14default_configENS1_22reduce_config_selectorIiEEZNS1_11reduce_implILb1ES3_N6thrust23THRUST_200600_302600_NS11hip_rocprim35transform_pair_of_input_iterators_tIiNS8_6detail15normal_iteratorINS8_10device_ptrIKcEEEESG_13is_word_startEEPiiNS8_4plusIiEEEE10hipError_tPvRmT1_T2_T3_mT4_P12ihipStream_tbEUlT_E0_NS1_11comp_targetILNS1_3genE9ELNS1_11target_archE1100ELNS1_3gpuE3ELNS1_3repE0EEENS1_30default_config_static_selectorELNS0_4arch9wavefront6targetE1EEEvSP_: ; @_ZN7rocprim17ROCPRIM_400000_NS6detail17trampoline_kernelINS0_14default_configENS1_22reduce_config_selectorIiEEZNS1_11reduce_implILb1ES3_N6thrust23THRUST_200600_302600_NS11hip_rocprim35transform_pair_of_input_iterators_tIiNS8_6detail15normal_iteratorINS8_10device_ptrIKcEEEESG_13is_word_startEEPiiNS8_4plusIiEEEE10hipError_tPvRmT1_T2_T3_mT4_P12ihipStream_tbEUlT_E0_NS1_11comp_targetILNS1_3genE9ELNS1_11target_archE1100ELNS1_3gpuE3ELNS1_3repE0EEENS1_30default_config_static_selectorELNS0_4arch9wavefront6targetE1EEEvSP_
; %bb.0:
	.section	.rodata,"a",@progbits
	.p2align	6, 0x0
	.amdhsa_kernel _ZN7rocprim17ROCPRIM_400000_NS6detail17trampoline_kernelINS0_14default_configENS1_22reduce_config_selectorIiEEZNS1_11reduce_implILb1ES3_N6thrust23THRUST_200600_302600_NS11hip_rocprim35transform_pair_of_input_iterators_tIiNS8_6detail15normal_iteratorINS8_10device_ptrIKcEEEESG_13is_word_startEEPiiNS8_4plusIiEEEE10hipError_tPvRmT1_T2_T3_mT4_P12ihipStream_tbEUlT_E0_NS1_11comp_targetILNS1_3genE9ELNS1_11target_archE1100ELNS1_3gpuE3ELNS1_3repE0EEENS1_30default_config_static_selectorELNS0_4arch9wavefront6targetE1EEEvSP_
		.amdhsa_group_segment_fixed_size 0
		.amdhsa_private_segment_fixed_size 0
		.amdhsa_kernarg_size 72
		.amdhsa_user_sgpr_count 6
		.amdhsa_user_sgpr_private_segment_buffer 1
		.amdhsa_user_sgpr_dispatch_ptr 0
		.amdhsa_user_sgpr_queue_ptr 0
		.amdhsa_user_sgpr_kernarg_segment_ptr 1
		.amdhsa_user_sgpr_dispatch_id 0
		.amdhsa_user_sgpr_flat_scratch_init 0
		.amdhsa_user_sgpr_kernarg_preload_length 0
		.amdhsa_user_sgpr_kernarg_preload_offset 0
		.amdhsa_user_sgpr_private_segment_size 0
		.amdhsa_uses_dynamic_stack 0
		.amdhsa_system_sgpr_private_segment_wavefront_offset 0
		.amdhsa_system_sgpr_workgroup_id_x 1
		.amdhsa_system_sgpr_workgroup_id_y 0
		.amdhsa_system_sgpr_workgroup_id_z 0
		.amdhsa_system_sgpr_workgroup_info 0
		.amdhsa_system_vgpr_workitem_id 0
		.amdhsa_next_free_vgpr 1
		.amdhsa_next_free_sgpr 0
		.amdhsa_accum_offset 4
		.amdhsa_reserve_vcc 0
		.amdhsa_reserve_flat_scratch 0
		.amdhsa_float_round_mode_32 0
		.amdhsa_float_round_mode_16_64 0
		.amdhsa_float_denorm_mode_32 3
		.amdhsa_float_denorm_mode_16_64 3
		.amdhsa_dx10_clamp 1
		.amdhsa_ieee_mode 1
		.amdhsa_fp16_overflow 0
		.amdhsa_tg_split 0
		.amdhsa_exception_fp_ieee_invalid_op 0
		.amdhsa_exception_fp_denorm_src 0
		.amdhsa_exception_fp_ieee_div_zero 0
		.amdhsa_exception_fp_ieee_overflow 0
		.amdhsa_exception_fp_ieee_underflow 0
		.amdhsa_exception_fp_ieee_inexact 0
		.amdhsa_exception_int_div_zero 0
	.end_amdhsa_kernel
	.section	.text._ZN7rocprim17ROCPRIM_400000_NS6detail17trampoline_kernelINS0_14default_configENS1_22reduce_config_selectorIiEEZNS1_11reduce_implILb1ES3_N6thrust23THRUST_200600_302600_NS11hip_rocprim35transform_pair_of_input_iterators_tIiNS8_6detail15normal_iteratorINS8_10device_ptrIKcEEEESG_13is_word_startEEPiiNS8_4plusIiEEEE10hipError_tPvRmT1_T2_T3_mT4_P12ihipStream_tbEUlT_E0_NS1_11comp_targetILNS1_3genE9ELNS1_11target_archE1100ELNS1_3gpuE3ELNS1_3repE0EEENS1_30default_config_static_selectorELNS0_4arch9wavefront6targetE1EEEvSP_,"axG",@progbits,_ZN7rocprim17ROCPRIM_400000_NS6detail17trampoline_kernelINS0_14default_configENS1_22reduce_config_selectorIiEEZNS1_11reduce_implILb1ES3_N6thrust23THRUST_200600_302600_NS11hip_rocprim35transform_pair_of_input_iterators_tIiNS8_6detail15normal_iteratorINS8_10device_ptrIKcEEEESG_13is_word_startEEPiiNS8_4plusIiEEEE10hipError_tPvRmT1_T2_T3_mT4_P12ihipStream_tbEUlT_E0_NS1_11comp_targetILNS1_3genE9ELNS1_11target_archE1100ELNS1_3gpuE3ELNS1_3repE0EEENS1_30default_config_static_selectorELNS0_4arch9wavefront6targetE1EEEvSP_,comdat
.Lfunc_end25:
	.size	_ZN7rocprim17ROCPRIM_400000_NS6detail17trampoline_kernelINS0_14default_configENS1_22reduce_config_selectorIiEEZNS1_11reduce_implILb1ES3_N6thrust23THRUST_200600_302600_NS11hip_rocprim35transform_pair_of_input_iterators_tIiNS8_6detail15normal_iteratorINS8_10device_ptrIKcEEEESG_13is_word_startEEPiiNS8_4plusIiEEEE10hipError_tPvRmT1_T2_T3_mT4_P12ihipStream_tbEUlT_E0_NS1_11comp_targetILNS1_3genE9ELNS1_11target_archE1100ELNS1_3gpuE3ELNS1_3repE0EEENS1_30default_config_static_selectorELNS0_4arch9wavefront6targetE1EEEvSP_, .Lfunc_end25-_ZN7rocprim17ROCPRIM_400000_NS6detail17trampoline_kernelINS0_14default_configENS1_22reduce_config_selectorIiEEZNS1_11reduce_implILb1ES3_N6thrust23THRUST_200600_302600_NS11hip_rocprim35transform_pair_of_input_iterators_tIiNS8_6detail15normal_iteratorINS8_10device_ptrIKcEEEESG_13is_word_startEEPiiNS8_4plusIiEEEE10hipError_tPvRmT1_T2_T3_mT4_P12ihipStream_tbEUlT_E0_NS1_11comp_targetILNS1_3genE9ELNS1_11target_archE1100ELNS1_3gpuE3ELNS1_3repE0EEENS1_30default_config_static_selectorELNS0_4arch9wavefront6targetE1EEEvSP_
                                        ; -- End function
	.section	.AMDGPU.csdata,"",@progbits
; Kernel info:
; codeLenInByte = 0
; NumSgprs: 4
; NumVgprs: 0
; NumAgprs: 0
; TotalNumVgprs: 0
; ScratchSize: 0
; MemoryBound: 0
; FloatMode: 240
; IeeeMode: 1
; LDSByteSize: 0 bytes/workgroup (compile time only)
; SGPRBlocks: 0
; VGPRBlocks: 0
; NumSGPRsForWavesPerEU: 4
; NumVGPRsForWavesPerEU: 1
; AccumOffset: 4
; Occupancy: 8
; WaveLimiterHint : 0
; COMPUTE_PGM_RSRC2:SCRATCH_EN: 0
; COMPUTE_PGM_RSRC2:USER_SGPR: 6
; COMPUTE_PGM_RSRC2:TRAP_HANDLER: 0
; COMPUTE_PGM_RSRC2:TGID_X_EN: 1
; COMPUTE_PGM_RSRC2:TGID_Y_EN: 0
; COMPUTE_PGM_RSRC2:TGID_Z_EN: 0
; COMPUTE_PGM_RSRC2:TIDIG_COMP_CNT: 0
; COMPUTE_PGM_RSRC3_GFX90A:ACCUM_OFFSET: 0
; COMPUTE_PGM_RSRC3_GFX90A:TG_SPLIT: 0
	.section	.text._ZN7rocprim17ROCPRIM_400000_NS6detail17trampoline_kernelINS0_14default_configENS1_22reduce_config_selectorIiEEZNS1_11reduce_implILb1ES3_N6thrust23THRUST_200600_302600_NS11hip_rocprim35transform_pair_of_input_iterators_tIiNS8_6detail15normal_iteratorINS8_10device_ptrIKcEEEESG_13is_word_startEEPiiNS8_4plusIiEEEE10hipError_tPvRmT1_T2_T3_mT4_P12ihipStream_tbEUlT_E0_NS1_11comp_targetILNS1_3genE8ELNS1_11target_archE1030ELNS1_3gpuE2ELNS1_3repE0EEENS1_30default_config_static_selectorELNS0_4arch9wavefront6targetE1EEEvSP_,"axG",@progbits,_ZN7rocprim17ROCPRIM_400000_NS6detail17trampoline_kernelINS0_14default_configENS1_22reduce_config_selectorIiEEZNS1_11reduce_implILb1ES3_N6thrust23THRUST_200600_302600_NS11hip_rocprim35transform_pair_of_input_iterators_tIiNS8_6detail15normal_iteratorINS8_10device_ptrIKcEEEESG_13is_word_startEEPiiNS8_4plusIiEEEE10hipError_tPvRmT1_T2_T3_mT4_P12ihipStream_tbEUlT_E0_NS1_11comp_targetILNS1_3genE8ELNS1_11target_archE1030ELNS1_3gpuE2ELNS1_3repE0EEENS1_30default_config_static_selectorELNS0_4arch9wavefront6targetE1EEEvSP_,comdat
	.protected	_ZN7rocprim17ROCPRIM_400000_NS6detail17trampoline_kernelINS0_14default_configENS1_22reduce_config_selectorIiEEZNS1_11reduce_implILb1ES3_N6thrust23THRUST_200600_302600_NS11hip_rocprim35transform_pair_of_input_iterators_tIiNS8_6detail15normal_iteratorINS8_10device_ptrIKcEEEESG_13is_word_startEEPiiNS8_4plusIiEEEE10hipError_tPvRmT1_T2_T3_mT4_P12ihipStream_tbEUlT_E0_NS1_11comp_targetILNS1_3genE8ELNS1_11target_archE1030ELNS1_3gpuE2ELNS1_3repE0EEENS1_30default_config_static_selectorELNS0_4arch9wavefront6targetE1EEEvSP_ ; -- Begin function _ZN7rocprim17ROCPRIM_400000_NS6detail17trampoline_kernelINS0_14default_configENS1_22reduce_config_selectorIiEEZNS1_11reduce_implILb1ES3_N6thrust23THRUST_200600_302600_NS11hip_rocprim35transform_pair_of_input_iterators_tIiNS8_6detail15normal_iteratorINS8_10device_ptrIKcEEEESG_13is_word_startEEPiiNS8_4plusIiEEEE10hipError_tPvRmT1_T2_T3_mT4_P12ihipStream_tbEUlT_E0_NS1_11comp_targetILNS1_3genE8ELNS1_11target_archE1030ELNS1_3gpuE2ELNS1_3repE0EEENS1_30default_config_static_selectorELNS0_4arch9wavefront6targetE1EEEvSP_
	.globl	_ZN7rocprim17ROCPRIM_400000_NS6detail17trampoline_kernelINS0_14default_configENS1_22reduce_config_selectorIiEEZNS1_11reduce_implILb1ES3_N6thrust23THRUST_200600_302600_NS11hip_rocprim35transform_pair_of_input_iterators_tIiNS8_6detail15normal_iteratorINS8_10device_ptrIKcEEEESG_13is_word_startEEPiiNS8_4plusIiEEEE10hipError_tPvRmT1_T2_T3_mT4_P12ihipStream_tbEUlT_E0_NS1_11comp_targetILNS1_3genE8ELNS1_11target_archE1030ELNS1_3gpuE2ELNS1_3repE0EEENS1_30default_config_static_selectorELNS0_4arch9wavefront6targetE1EEEvSP_
	.p2align	8
	.type	_ZN7rocprim17ROCPRIM_400000_NS6detail17trampoline_kernelINS0_14default_configENS1_22reduce_config_selectorIiEEZNS1_11reduce_implILb1ES3_N6thrust23THRUST_200600_302600_NS11hip_rocprim35transform_pair_of_input_iterators_tIiNS8_6detail15normal_iteratorINS8_10device_ptrIKcEEEESG_13is_word_startEEPiiNS8_4plusIiEEEE10hipError_tPvRmT1_T2_T3_mT4_P12ihipStream_tbEUlT_E0_NS1_11comp_targetILNS1_3genE8ELNS1_11target_archE1030ELNS1_3gpuE2ELNS1_3repE0EEENS1_30default_config_static_selectorELNS0_4arch9wavefront6targetE1EEEvSP_,@function
_ZN7rocprim17ROCPRIM_400000_NS6detail17trampoline_kernelINS0_14default_configENS1_22reduce_config_selectorIiEEZNS1_11reduce_implILb1ES3_N6thrust23THRUST_200600_302600_NS11hip_rocprim35transform_pair_of_input_iterators_tIiNS8_6detail15normal_iteratorINS8_10device_ptrIKcEEEESG_13is_word_startEEPiiNS8_4plusIiEEEE10hipError_tPvRmT1_T2_T3_mT4_P12ihipStream_tbEUlT_E0_NS1_11comp_targetILNS1_3genE8ELNS1_11target_archE1030ELNS1_3gpuE2ELNS1_3repE0EEENS1_30default_config_static_selectorELNS0_4arch9wavefront6targetE1EEEvSP_: ; @_ZN7rocprim17ROCPRIM_400000_NS6detail17trampoline_kernelINS0_14default_configENS1_22reduce_config_selectorIiEEZNS1_11reduce_implILb1ES3_N6thrust23THRUST_200600_302600_NS11hip_rocprim35transform_pair_of_input_iterators_tIiNS8_6detail15normal_iteratorINS8_10device_ptrIKcEEEESG_13is_word_startEEPiiNS8_4plusIiEEEE10hipError_tPvRmT1_T2_T3_mT4_P12ihipStream_tbEUlT_E0_NS1_11comp_targetILNS1_3genE8ELNS1_11target_archE1030ELNS1_3gpuE2ELNS1_3repE0EEENS1_30default_config_static_selectorELNS0_4arch9wavefront6targetE1EEEvSP_
; %bb.0:
	.section	.rodata,"a",@progbits
	.p2align	6, 0x0
	.amdhsa_kernel _ZN7rocprim17ROCPRIM_400000_NS6detail17trampoline_kernelINS0_14default_configENS1_22reduce_config_selectorIiEEZNS1_11reduce_implILb1ES3_N6thrust23THRUST_200600_302600_NS11hip_rocprim35transform_pair_of_input_iterators_tIiNS8_6detail15normal_iteratorINS8_10device_ptrIKcEEEESG_13is_word_startEEPiiNS8_4plusIiEEEE10hipError_tPvRmT1_T2_T3_mT4_P12ihipStream_tbEUlT_E0_NS1_11comp_targetILNS1_3genE8ELNS1_11target_archE1030ELNS1_3gpuE2ELNS1_3repE0EEENS1_30default_config_static_selectorELNS0_4arch9wavefront6targetE1EEEvSP_
		.amdhsa_group_segment_fixed_size 0
		.amdhsa_private_segment_fixed_size 0
		.amdhsa_kernarg_size 72
		.amdhsa_user_sgpr_count 6
		.amdhsa_user_sgpr_private_segment_buffer 1
		.amdhsa_user_sgpr_dispatch_ptr 0
		.amdhsa_user_sgpr_queue_ptr 0
		.amdhsa_user_sgpr_kernarg_segment_ptr 1
		.amdhsa_user_sgpr_dispatch_id 0
		.amdhsa_user_sgpr_flat_scratch_init 0
		.amdhsa_user_sgpr_kernarg_preload_length 0
		.amdhsa_user_sgpr_kernarg_preload_offset 0
		.amdhsa_user_sgpr_private_segment_size 0
		.amdhsa_uses_dynamic_stack 0
		.amdhsa_system_sgpr_private_segment_wavefront_offset 0
		.amdhsa_system_sgpr_workgroup_id_x 1
		.amdhsa_system_sgpr_workgroup_id_y 0
		.amdhsa_system_sgpr_workgroup_id_z 0
		.amdhsa_system_sgpr_workgroup_info 0
		.amdhsa_system_vgpr_workitem_id 0
		.amdhsa_next_free_vgpr 1
		.amdhsa_next_free_sgpr 0
		.amdhsa_accum_offset 4
		.amdhsa_reserve_vcc 0
		.amdhsa_reserve_flat_scratch 0
		.amdhsa_float_round_mode_32 0
		.amdhsa_float_round_mode_16_64 0
		.amdhsa_float_denorm_mode_32 3
		.amdhsa_float_denorm_mode_16_64 3
		.amdhsa_dx10_clamp 1
		.amdhsa_ieee_mode 1
		.amdhsa_fp16_overflow 0
		.amdhsa_tg_split 0
		.amdhsa_exception_fp_ieee_invalid_op 0
		.amdhsa_exception_fp_denorm_src 0
		.amdhsa_exception_fp_ieee_div_zero 0
		.amdhsa_exception_fp_ieee_overflow 0
		.amdhsa_exception_fp_ieee_underflow 0
		.amdhsa_exception_fp_ieee_inexact 0
		.amdhsa_exception_int_div_zero 0
	.end_amdhsa_kernel
	.section	.text._ZN7rocprim17ROCPRIM_400000_NS6detail17trampoline_kernelINS0_14default_configENS1_22reduce_config_selectorIiEEZNS1_11reduce_implILb1ES3_N6thrust23THRUST_200600_302600_NS11hip_rocprim35transform_pair_of_input_iterators_tIiNS8_6detail15normal_iteratorINS8_10device_ptrIKcEEEESG_13is_word_startEEPiiNS8_4plusIiEEEE10hipError_tPvRmT1_T2_T3_mT4_P12ihipStream_tbEUlT_E0_NS1_11comp_targetILNS1_3genE8ELNS1_11target_archE1030ELNS1_3gpuE2ELNS1_3repE0EEENS1_30default_config_static_selectorELNS0_4arch9wavefront6targetE1EEEvSP_,"axG",@progbits,_ZN7rocprim17ROCPRIM_400000_NS6detail17trampoline_kernelINS0_14default_configENS1_22reduce_config_selectorIiEEZNS1_11reduce_implILb1ES3_N6thrust23THRUST_200600_302600_NS11hip_rocprim35transform_pair_of_input_iterators_tIiNS8_6detail15normal_iteratorINS8_10device_ptrIKcEEEESG_13is_word_startEEPiiNS8_4plusIiEEEE10hipError_tPvRmT1_T2_T3_mT4_P12ihipStream_tbEUlT_E0_NS1_11comp_targetILNS1_3genE8ELNS1_11target_archE1030ELNS1_3gpuE2ELNS1_3repE0EEENS1_30default_config_static_selectorELNS0_4arch9wavefront6targetE1EEEvSP_,comdat
.Lfunc_end26:
	.size	_ZN7rocprim17ROCPRIM_400000_NS6detail17trampoline_kernelINS0_14default_configENS1_22reduce_config_selectorIiEEZNS1_11reduce_implILb1ES3_N6thrust23THRUST_200600_302600_NS11hip_rocprim35transform_pair_of_input_iterators_tIiNS8_6detail15normal_iteratorINS8_10device_ptrIKcEEEESG_13is_word_startEEPiiNS8_4plusIiEEEE10hipError_tPvRmT1_T2_T3_mT4_P12ihipStream_tbEUlT_E0_NS1_11comp_targetILNS1_3genE8ELNS1_11target_archE1030ELNS1_3gpuE2ELNS1_3repE0EEENS1_30default_config_static_selectorELNS0_4arch9wavefront6targetE1EEEvSP_, .Lfunc_end26-_ZN7rocprim17ROCPRIM_400000_NS6detail17trampoline_kernelINS0_14default_configENS1_22reduce_config_selectorIiEEZNS1_11reduce_implILb1ES3_N6thrust23THRUST_200600_302600_NS11hip_rocprim35transform_pair_of_input_iterators_tIiNS8_6detail15normal_iteratorINS8_10device_ptrIKcEEEESG_13is_word_startEEPiiNS8_4plusIiEEEE10hipError_tPvRmT1_T2_T3_mT4_P12ihipStream_tbEUlT_E0_NS1_11comp_targetILNS1_3genE8ELNS1_11target_archE1030ELNS1_3gpuE2ELNS1_3repE0EEENS1_30default_config_static_selectorELNS0_4arch9wavefront6targetE1EEEvSP_
                                        ; -- End function
	.section	.AMDGPU.csdata,"",@progbits
; Kernel info:
; codeLenInByte = 0
; NumSgprs: 4
; NumVgprs: 0
; NumAgprs: 0
; TotalNumVgprs: 0
; ScratchSize: 0
; MemoryBound: 0
; FloatMode: 240
; IeeeMode: 1
; LDSByteSize: 0 bytes/workgroup (compile time only)
; SGPRBlocks: 0
; VGPRBlocks: 0
; NumSGPRsForWavesPerEU: 4
; NumVGPRsForWavesPerEU: 1
; AccumOffset: 4
; Occupancy: 8
; WaveLimiterHint : 0
; COMPUTE_PGM_RSRC2:SCRATCH_EN: 0
; COMPUTE_PGM_RSRC2:USER_SGPR: 6
; COMPUTE_PGM_RSRC2:TRAP_HANDLER: 0
; COMPUTE_PGM_RSRC2:TGID_X_EN: 1
; COMPUTE_PGM_RSRC2:TGID_Y_EN: 0
; COMPUTE_PGM_RSRC2:TGID_Z_EN: 0
; COMPUTE_PGM_RSRC2:TIDIG_COMP_CNT: 0
; COMPUTE_PGM_RSRC3_GFX90A:ACCUM_OFFSET: 0
; COMPUTE_PGM_RSRC3_GFX90A:TG_SPLIT: 0
	.section	.text._ZN7rocprim17ROCPRIM_400000_NS6detail17trampoline_kernelINS0_14default_configENS1_22reduce_config_selectorIiEEZNS1_11reduce_implILb1ES3_N6thrust23THRUST_200600_302600_NS11hip_rocprim35transform_pair_of_input_iterators_tIiNS8_6detail15normal_iteratorINS8_10device_ptrIKcEEEESG_13is_word_startEEPiiNS8_4plusIiEEEE10hipError_tPvRmT1_T2_T3_mT4_P12ihipStream_tbEUlT_E1_NS1_11comp_targetILNS1_3genE0ELNS1_11target_archE4294967295ELNS1_3gpuE0ELNS1_3repE0EEENS1_30default_config_static_selectorELNS0_4arch9wavefront6targetE1EEEvSP_,"axG",@progbits,_ZN7rocprim17ROCPRIM_400000_NS6detail17trampoline_kernelINS0_14default_configENS1_22reduce_config_selectorIiEEZNS1_11reduce_implILb1ES3_N6thrust23THRUST_200600_302600_NS11hip_rocprim35transform_pair_of_input_iterators_tIiNS8_6detail15normal_iteratorINS8_10device_ptrIKcEEEESG_13is_word_startEEPiiNS8_4plusIiEEEE10hipError_tPvRmT1_T2_T3_mT4_P12ihipStream_tbEUlT_E1_NS1_11comp_targetILNS1_3genE0ELNS1_11target_archE4294967295ELNS1_3gpuE0ELNS1_3repE0EEENS1_30default_config_static_selectorELNS0_4arch9wavefront6targetE1EEEvSP_,comdat
	.protected	_ZN7rocprim17ROCPRIM_400000_NS6detail17trampoline_kernelINS0_14default_configENS1_22reduce_config_selectorIiEEZNS1_11reduce_implILb1ES3_N6thrust23THRUST_200600_302600_NS11hip_rocprim35transform_pair_of_input_iterators_tIiNS8_6detail15normal_iteratorINS8_10device_ptrIKcEEEESG_13is_word_startEEPiiNS8_4plusIiEEEE10hipError_tPvRmT1_T2_T3_mT4_P12ihipStream_tbEUlT_E1_NS1_11comp_targetILNS1_3genE0ELNS1_11target_archE4294967295ELNS1_3gpuE0ELNS1_3repE0EEENS1_30default_config_static_selectorELNS0_4arch9wavefront6targetE1EEEvSP_ ; -- Begin function _ZN7rocprim17ROCPRIM_400000_NS6detail17trampoline_kernelINS0_14default_configENS1_22reduce_config_selectorIiEEZNS1_11reduce_implILb1ES3_N6thrust23THRUST_200600_302600_NS11hip_rocprim35transform_pair_of_input_iterators_tIiNS8_6detail15normal_iteratorINS8_10device_ptrIKcEEEESG_13is_word_startEEPiiNS8_4plusIiEEEE10hipError_tPvRmT1_T2_T3_mT4_P12ihipStream_tbEUlT_E1_NS1_11comp_targetILNS1_3genE0ELNS1_11target_archE4294967295ELNS1_3gpuE0ELNS1_3repE0EEENS1_30default_config_static_selectorELNS0_4arch9wavefront6targetE1EEEvSP_
	.globl	_ZN7rocprim17ROCPRIM_400000_NS6detail17trampoline_kernelINS0_14default_configENS1_22reduce_config_selectorIiEEZNS1_11reduce_implILb1ES3_N6thrust23THRUST_200600_302600_NS11hip_rocprim35transform_pair_of_input_iterators_tIiNS8_6detail15normal_iteratorINS8_10device_ptrIKcEEEESG_13is_word_startEEPiiNS8_4plusIiEEEE10hipError_tPvRmT1_T2_T3_mT4_P12ihipStream_tbEUlT_E1_NS1_11comp_targetILNS1_3genE0ELNS1_11target_archE4294967295ELNS1_3gpuE0ELNS1_3repE0EEENS1_30default_config_static_selectorELNS0_4arch9wavefront6targetE1EEEvSP_
	.p2align	8
	.type	_ZN7rocprim17ROCPRIM_400000_NS6detail17trampoline_kernelINS0_14default_configENS1_22reduce_config_selectorIiEEZNS1_11reduce_implILb1ES3_N6thrust23THRUST_200600_302600_NS11hip_rocprim35transform_pair_of_input_iterators_tIiNS8_6detail15normal_iteratorINS8_10device_ptrIKcEEEESG_13is_word_startEEPiiNS8_4plusIiEEEE10hipError_tPvRmT1_T2_T3_mT4_P12ihipStream_tbEUlT_E1_NS1_11comp_targetILNS1_3genE0ELNS1_11target_archE4294967295ELNS1_3gpuE0ELNS1_3repE0EEENS1_30default_config_static_selectorELNS0_4arch9wavefront6targetE1EEEvSP_,@function
_ZN7rocprim17ROCPRIM_400000_NS6detail17trampoline_kernelINS0_14default_configENS1_22reduce_config_selectorIiEEZNS1_11reduce_implILb1ES3_N6thrust23THRUST_200600_302600_NS11hip_rocprim35transform_pair_of_input_iterators_tIiNS8_6detail15normal_iteratorINS8_10device_ptrIKcEEEESG_13is_word_startEEPiiNS8_4plusIiEEEE10hipError_tPvRmT1_T2_T3_mT4_P12ihipStream_tbEUlT_E1_NS1_11comp_targetILNS1_3genE0ELNS1_11target_archE4294967295ELNS1_3gpuE0ELNS1_3repE0EEENS1_30default_config_static_selectorELNS0_4arch9wavefront6targetE1EEEvSP_: ; @_ZN7rocprim17ROCPRIM_400000_NS6detail17trampoline_kernelINS0_14default_configENS1_22reduce_config_selectorIiEEZNS1_11reduce_implILb1ES3_N6thrust23THRUST_200600_302600_NS11hip_rocprim35transform_pair_of_input_iterators_tIiNS8_6detail15normal_iteratorINS8_10device_ptrIKcEEEESG_13is_word_startEEPiiNS8_4plusIiEEEE10hipError_tPvRmT1_T2_T3_mT4_P12ihipStream_tbEUlT_E1_NS1_11comp_targetILNS1_3genE0ELNS1_11target_archE4294967295ELNS1_3gpuE0ELNS1_3repE0EEENS1_30default_config_static_selectorELNS0_4arch9wavefront6targetE1EEEvSP_
; %bb.0:
	.section	.rodata,"a",@progbits
	.p2align	6, 0x0
	.amdhsa_kernel _ZN7rocprim17ROCPRIM_400000_NS6detail17trampoline_kernelINS0_14default_configENS1_22reduce_config_selectorIiEEZNS1_11reduce_implILb1ES3_N6thrust23THRUST_200600_302600_NS11hip_rocprim35transform_pair_of_input_iterators_tIiNS8_6detail15normal_iteratorINS8_10device_ptrIKcEEEESG_13is_word_startEEPiiNS8_4plusIiEEEE10hipError_tPvRmT1_T2_T3_mT4_P12ihipStream_tbEUlT_E1_NS1_11comp_targetILNS1_3genE0ELNS1_11target_archE4294967295ELNS1_3gpuE0ELNS1_3repE0EEENS1_30default_config_static_selectorELNS0_4arch9wavefront6targetE1EEEvSP_
		.amdhsa_group_segment_fixed_size 0
		.amdhsa_private_segment_fixed_size 0
		.amdhsa_kernarg_size 56
		.amdhsa_user_sgpr_count 6
		.amdhsa_user_sgpr_private_segment_buffer 1
		.amdhsa_user_sgpr_dispatch_ptr 0
		.amdhsa_user_sgpr_queue_ptr 0
		.amdhsa_user_sgpr_kernarg_segment_ptr 1
		.amdhsa_user_sgpr_dispatch_id 0
		.amdhsa_user_sgpr_flat_scratch_init 0
		.amdhsa_user_sgpr_kernarg_preload_length 0
		.amdhsa_user_sgpr_kernarg_preload_offset 0
		.amdhsa_user_sgpr_private_segment_size 0
		.amdhsa_uses_dynamic_stack 0
		.amdhsa_system_sgpr_private_segment_wavefront_offset 0
		.amdhsa_system_sgpr_workgroup_id_x 1
		.amdhsa_system_sgpr_workgroup_id_y 0
		.amdhsa_system_sgpr_workgroup_id_z 0
		.amdhsa_system_sgpr_workgroup_info 0
		.amdhsa_system_vgpr_workitem_id 0
		.amdhsa_next_free_vgpr 1
		.amdhsa_next_free_sgpr 0
		.amdhsa_accum_offset 4
		.amdhsa_reserve_vcc 0
		.amdhsa_reserve_flat_scratch 0
		.amdhsa_float_round_mode_32 0
		.amdhsa_float_round_mode_16_64 0
		.amdhsa_float_denorm_mode_32 3
		.amdhsa_float_denorm_mode_16_64 3
		.amdhsa_dx10_clamp 1
		.amdhsa_ieee_mode 1
		.amdhsa_fp16_overflow 0
		.amdhsa_tg_split 0
		.amdhsa_exception_fp_ieee_invalid_op 0
		.amdhsa_exception_fp_denorm_src 0
		.amdhsa_exception_fp_ieee_div_zero 0
		.amdhsa_exception_fp_ieee_overflow 0
		.amdhsa_exception_fp_ieee_underflow 0
		.amdhsa_exception_fp_ieee_inexact 0
		.amdhsa_exception_int_div_zero 0
	.end_amdhsa_kernel
	.section	.text._ZN7rocprim17ROCPRIM_400000_NS6detail17trampoline_kernelINS0_14default_configENS1_22reduce_config_selectorIiEEZNS1_11reduce_implILb1ES3_N6thrust23THRUST_200600_302600_NS11hip_rocprim35transform_pair_of_input_iterators_tIiNS8_6detail15normal_iteratorINS8_10device_ptrIKcEEEESG_13is_word_startEEPiiNS8_4plusIiEEEE10hipError_tPvRmT1_T2_T3_mT4_P12ihipStream_tbEUlT_E1_NS1_11comp_targetILNS1_3genE0ELNS1_11target_archE4294967295ELNS1_3gpuE0ELNS1_3repE0EEENS1_30default_config_static_selectorELNS0_4arch9wavefront6targetE1EEEvSP_,"axG",@progbits,_ZN7rocprim17ROCPRIM_400000_NS6detail17trampoline_kernelINS0_14default_configENS1_22reduce_config_selectorIiEEZNS1_11reduce_implILb1ES3_N6thrust23THRUST_200600_302600_NS11hip_rocprim35transform_pair_of_input_iterators_tIiNS8_6detail15normal_iteratorINS8_10device_ptrIKcEEEESG_13is_word_startEEPiiNS8_4plusIiEEEE10hipError_tPvRmT1_T2_T3_mT4_P12ihipStream_tbEUlT_E1_NS1_11comp_targetILNS1_3genE0ELNS1_11target_archE4294967295ELNS1_3gpuE0ELNS1_3repE0EEENS1_30default_config_static_selectorELNS0_4arch9wavefront6targetE1EEEvSP_,comdat
.Lfunc_end27:
	.size	_ZN7rocprim17ROCPRIM_400000_NS6detail17trampoline_kernelINS0_14default_configENS1_22reduce_config_selectorIiEEZNS1_11reduce_implILb1ES3_N6thrust23THRUST_200600_302600_NS11hip_rocprim35transform_pair_of_input_iterators_tIiNS8_6detail15normal_iteratorINS8_10device_ptrIKcEEEESG_13is_word_startEEPiiNS8_4plusIiEEEE10hipError_tPvRmT1_T2_T3_mT4_P12ihipStream_tbEUlT_E1_NS1_11comp_targetILNS1_3genE0ELNS1_11target_archE4294967295ELNS1_3gpuE0ELNS1_3repE0EEENS1_30default_config_static_selectorELNS0_4arch9wavefront6targetE1EEEvSP_, .Lfunc_end27-_ZN7rocprim17ROCPRIM_400000_NS6detail17trampoline_kernelINS0_14default_configENS1_22reduce_config_selectorIiEEZNS1_11reduce_implILb1ES3_N6thrust23THRUST_200600_302600_NS11hip_rocprim35transform_pair_of_input_iterators_tIiNS8_6detail15normal_iteratorINS8_10device_ptrIKcEEEESG_13is_word_startEEPiiNS8_4plusIiEEEE10hipError_tPvRmT1_T2_T3_mT4_P12ihipStream_tbEUlT_E1_NS1_11comp_targetILNS1_3genE0ELNS1_11target_archE4294967295ELNS1_3gpuE0ELNS1_3repE0EEENS1_30default_config_static_selectorELNS0_4arch9wavefront6targetE1EEEvSP_
                                        ; -- End function
	.section	.AMDGPU.csdata,"",@progbits
; Kernel info:
; codeLenInByte = 0
; NumSgprs: 4
; NumVgprs: 0
; NumAgprs: 0
; TotalNumVgprs: 0
; ScratchSize: 0
; MemoryBound: 0
; FloatMode: 240
; IeeeMode: 1
; LDSByteSize: 0 bytes/workgroup (compile time only)
; SGPRBlocks: 0
; VGPRBlocks: 0
; NumSGPRsForWavesPerEU: 4
; NumVGPRsForWavesPerEU: 1
; AccumOffset: 4
; Occupancy: 8
; WaveLimiterHint : 0
; COMPUTE_PGM_RSRC2:SCRATCH_EN: 0
; COMPUTE_PGM_RSRC2:USER_SGPR: 6
; COMPUTE_PGM_RSRC2:TRAP_HANDLER: 0
; COMPUTE_PGM_RSRC2:TGID_X_EN: 1
; COMPUTE_PGM_RSRC2:TGID_Y_EN: 0
; COMPUTE_PGM_RSRC2:TGID_Z_EN: 0
; COMPUTE_PGM_RSRC2:TIDIG_COMP_CNT: 0
; COMPUTE_PGM_RSRC3_GFX90A:ACCUM_OFFSET: 0
; COMPUTE_PGM_RSRC3_GFX90A:TG_SPLIT: 0
	.section	.text._ZN7rocprim17ROCPRIM_400000_NS6detail17trampoline_kernelINS0_14default_configENS1_22reduce_config_selectorIiEEZNS1_11reduce_implILb1ES3_N6thrust23THRUST_200600_302600_NS11hip_rocprim35transform_pair_of_input_iterators_tIiNS8_6detail15normal_iteratorINS8_10device_ptrIKcEEEESG_13is_word_startEEPiiNS8_4plusIiEEEE10hipError_tPvRmT1_T2_T3_mT4_P12ihipStream_tbEUlT_E1_NS1_11comp_targetILNS1_3genE5ELNS1_11target_archE942ELNS1_3gpuE9ELNS1_3repE0EEENS1_30default_config_static_selectorELNS0_4arch9wavefront6targetE1EEEvSP_,"axG",@progbits,_ZN7rocprim17ROCPRIM_400000_NS6detail17trampoline_kernelINS0_14default_configENS1_22reduce_config_selectorIiEEZNS1_11reduce_implILb1ES3_N6thrust23THRUST_200600_302600_NS11hip_rocprim35transform_pair_of_input_iterators_tIiNS8_6detail15normal_iteratorINS8_10device_ptrIKcEEEESG_13is_word_startEEPiiNS8_4plusIiEEEE10hipError_tPvRmT1_T2_T3_mT4_P12ihipStream_tbEUlT_E1_NS1_11comp_targetILNS1_3genE5ELNS1_11target_archE942ELNS1_3gpuE9ELNS1_3repE0EEENS1_30default_config_static_selectorELNS0_4arch9wavefront6targetE1EEEvSP_,comdat
	.protected	_ZN7rocprim17ROCPRIM_400000_NS6detail17trampoline_kernelINS0_14default_configENS1_22reduce_config_selectorIiEEZNS1_11reduce_implILb1ES3_N6thrust23THRUST_200600_302600_NS11hip_rocprim35transform_pair_of_input_iterators_tIiNS8_6detail15normal_iteratorINS8_10device_ptrIKcEEEESG_13is_word_startEEPiiNS8_4plusIiEEEE10hipError_tPvRmT1_T2_T3_mT4_P12ihipStream_tbEUlT_E1_NS1_11comp_targetILNS1_3genE5ELNS1_11target_archE942ELNS1_3gpuE9ELNS1_3repE0EEENS1_30default_config_static_selectorELNS0_4arch9wavefront6targetE1EEEvSP_ ; -- Begin function _ZN7rocprim17ROCPRIM_400000_NS6detail17trampoline_kernelINS0_14default_configENS1_22reduce_config_selectorIiEEZNS1_11reduce_implILb1ES3_N6thrust23THRUST_200600_302600_NS11hip_rocprim35transform_pair_of_input_iterators_tIiNS8_6detail15normal_iteratorINS8_10device_ptrIKcEEEESG_13is_word_startEEPiiNS8_4plusIiEEEE10hipError_tPvRmT1_T2_T3_mT4_P12ihipStream_tbEUlT_E1_NS1_11comp_targetILNS1_3genE5ELNS1_11target_archE942ELNS1_3gpuE9ELNS1_3repE0EEENS1_30default_config_static_selectorELNS0_4arch9wavefront6targetE1EEEvSP_
	.globl	_ZN7rocprim17ROCPRIM_400000_NS6detail17trampoline_kernelINS0_14default_configENS1_22reduce_config_selectorIiEEZNS1_11reduce_implILb1ES3_N6thrust23THRUST_200600_302600_NS11hip_rocprim35transform_pair_of_input_iterators_tIiNS8_6detail15normal_iteratorINS8_10device_ptrIKcEEEESG_13is_word_startEEPiiNS8_4plusIiEEEE10hipError_tPvRmT1_T2_T3_mT4_P12ihipStream_tbEUlT_E1_NS1_11comp_targetILNS1_3genE5ELNS1_11target_archE942ELNS1_3gpuE9ELNS1_3repE0EEENS1_30default_config_static_selectorELNS0_4arch9wavefront6targetE1EEEvSP_
	.p2align	8
	.type	_ZN7rocprim17ROCPRIM_400000_NS6detail17trampoline_kernelINS0_14default_configENS1_22reduce_config_selectorIiEEZNS1_11reduce_implILb1ES3_N6thrust23THRUST_200600_302600_NS11hip_rocprim35transform_pair_of_input_iterators_tIiNS8_6detail15normal_iteratorINS8_10device_ptrIKcEEEESG_13is_word_startEEPiiNS8_4plusIiEEEE10hipError_tPvRmT1_T2_T3_mT4_P12ihipStream_tbEUlT_E1_NS1_11comp_targetILNS1_3genE5ELNS1_11target_archE942ELNS1_3gpuE9ELNS1_3repE0EEENS1_30default_config_static_selectorELNS0_4arch9wavefront6targetE1EEEvSP_,@function
_ZN7rocprim17ROCPRIM_400000_NS6detail17trampoline_kernelINS0_14default_configENS1_22reduce_config_selectorIiEEZNS1_11reduce_implILb1ES3_N6thrust23THRUST_200600_302600_NS11hip_rocprim35transform_pair_of_input_iterators_tIiNS8_6detail15normal_iteratorINS8_10device_ptrIKcEEEESG_13is_word_startEEPiiNS8_4plusIiEEEE10hipError_tPvRmT1_T2_T3_mT4_P12ihipStream_tbEUlT_E1_NS1_11comp_targetILNS1_3genE5ELNS1_11target_archE942ELNS1_3gpuE9ELNS1_3repE0EEENS1_30default_config_static_selectorELNS0_4arch9wavefront6targetE1EEEvSP_: ; @_ZN7rocprim17ROCPRIM_400000_NS6detail17trampoline_kernelINS0_14default_configENS1_22reduce_config_selectorIiEEZNS1_11reduce_implILb1ES3_N6thrust23THRUST_200600_302600_NS11hip_rocprim35transform_pair_of_input_iterators_tIiNS8_6detail15normal_iteratorINS8_10device_ptrIKcEEEESG_13is_word_startEEPiiNS8_4plusIiEEEE10hipError_tPvRmT1_T2_T3_mT4_P12ihipStream_tbEUlT_E1_NS1_11comp_targetILNS1_3genE5ELNS1_11target_archE942ELNS1_3gpuE9ELNS1_3repE0EEENS1_30default_config_static_selectorELNS0_4arch9wavefront6targetE1EEEvSP_
; %bb.0:
	.section	.rodata,"a",@progbits
	.p2align	6, 0x0
	.amdhsa_kernel _ZN7rocprim17ROCPRIM_400000_NS6detail17trampoline_kernelINS0_14default_configENS1_22reduce_config_selectorIiEEZNS1_11reduce_implILb1ES3_N6thrust23THRUST_200600_302600_NS11hip_rocprim35transform_pair_of_input_iterators_tIiNS8_6detail15normal_iteratorINS8_10device_ptrIKcEEEESG_13is_word_startEEPiiNS8_4plusIiEEEE10hipError_tPvRmT1_T2_T3_mT4_P12ihipStream_tbEUlT_E1_NS1_11comp_targetILNS1_3genE5ELNS1_11target_archE942ELNS1_3gpuE9ELNS1_3repE0EEENS1_30default_config_static_selectorELNS0_4arch9wavefront6targetE1EEEvSP_
		.amdhsa_group_segment_fixed_size 0
		.amdhsa_private_segment_fixed_size 0
		.amdhsa_kernarg_size 56
		.amdhsa_user_sgpr_count 6
		.amdhsa_user_sgpr_private_segment_buffer 1
		.amdhsa_user_sgpr_dispatch_ptr 0
		.amdhsa_user_sgpr_queue_ptr 0
		.amdhsa_user_sgpr_kernarg_segment_ptr 1
		.amdhsa_user_sgpr_dispatch_id 0
		.amdhsa_user_sgpr_flat_scratch_init 0
		.amdhsa_user_sgpr_kernarg_preload_length 0
		.amdhsa_user_sgpr_kernarg_preload_offset 0
		.amdhsa_user_sgpr_private_segment_size 0
		.amdhsa_uses_dynamic_stack 0
		.amdhsa_system_sgpr_private_segment_wavefront_offset 0
		.amdhsa_system_sgpr_workgroup_id_x 1
		.amdhsa_system_sgpr_workgroup_id_y 0
		.amdhsa_system_sgpr_workgroup_id_z 0
		.amdhsa_system_sgpr_workgroup_info 0
		.amdhsa_system_vgpr_workitem_id 0
		.amdhsa_next_free_vgpr 1
		.amdhsa_next_free_sgpr 0
		.amdhsa_accum_offset 4
		.amdhsa_reserve_vcc 0
		.amdhsa_reserve_flat_scratch 0
		.amdhsa_float_round_mode_32 0
		.amdhsa_float_round_mode_16_64 0
		.amdhsa_float_denorm_mode_32 3
		.amdhsa_float_denorm_mode_16_64 3
		.amdhsa_dx10_clamp 1
		.amdhsa_ieee_mode 1
		.amdhsa_fp16_overflow 0
		.amdhsa_tg_split 0
		.amdhsa_exception_fp_ieee_invalid_op 0
		.amdhsa_exception_fp_denorm_src 0
		.amdhsa_exception_fp_ieee_div_zero 0
		.amdhsa_exception_fp_ieee_overflow 0
		.amdhsa_exception_fp_ieee_underflow 0
		.amdhsa_exception_fp_ieee_inexact 0
		.amdhsa_exception_int_div_zero 0
	.end_amdhsa_kernel
	.section	.text._ZN7rocprim17ROCPRIM_400000_NS6detail17trampoline_kernelINS0_14default_configENS1_22reduce_config_selectorIiEEZNS1_11reduce_implILb1ES3_N6thrust23THRUST_200600_302600_NS11hip_rocprim35transform_pair_of_input_iterators_tIiNS8_6detail15normal_iteratorINS8_10device_ptrIKcEEEESG_13is_word_startEEPiiNS8_4plusIiEEEE10hipError_tPvRmT1_T2_T3_mT4_P12ihipStream_tbEUlT_E1_NS1_11comp_targetILNS1_3genE5ELNS1_11target_archE942ELNS1_3gpuE9ELNS1_3repE0EEENS1_30default_config_static_selectorELNS0_4arch9wavefront6targetE1EEEvSP_,"axG",@progbits,_ZN7rocprim17ROCPRIM_400000_NS6detail17trampoline_kernelINS0_14default_configENS1_22reduce_config_selectorIiEEZNS1_11reduce_implILb1ES3_N6thrust23THRUST_200600_302600_NS11hip_rocprim35transform_pair_of_input_iterators_tIiNS8_6detail15normal_iteratorINS8_10device_ptrIKcEEEESG_13is_word_startEEPiiNS8_4plusIiEEEE10hipError_tPvRmT1_T2_T3_mT4_P12ihipStream_tbEUlT_E1_NS1_11comp_targetILNS1_3genE5ELNS1_11target_archE942ELNS1_3gpuE9ELNS1_3repE0EEENS1_30default_config_static_selectorELNS0_4arch9wavefront6targetE1EEEvSP_,comdat
.Lfunc_end28:
	.size	_ZN7rocprim17ROCPRIM_400000_NS6detail17trampoline_kernelINS0_14default_configENS1_22reduce_config_selectorIiEEZNS1_11reduce_implILb1ES3_N6thrust23THRUST_200600_302600_NS11hip_rocprim35transform_pair_of_input_iterators_tIiNS8_6detail15normal_iteratorINS8_10device_ptrIKcEEEESG_13is_word_startEEPiiNS8_4plusIiEEEE10hipError_tPvRmT1_T2_T3_mT4_P12ihipStream_tbEUlT_E1_NS1_11comp_targetILNS1_3genE5ELNS1_11target_archE942ELNS1_3gpuE9ELNS1_3repE0EEENS1_30default_config_static_selectorELNS0_4arch9wavefront6targetE1EEEvSP_, .Lfunc_end28-_ZN7rocprim17ROCPRIM_400000_NS6detail17trampoline_kernelINS0_14default_configENS1_22reduce_config_selectorIiEEZNS1_11reduce_implILb1ES3_N6thrust23THRUST_200600_302600_NS11hip_rocprim35transform_pair_of_input_iterators_tIiNS8_6detail15normal_iteratorINS8_10device_ptrIKcEEEESG_13is_word_startEEPiiNS8_4plusIiEEEE10hipError_tPvRmT1_T2_T3_mT4_P12ihipStream_tbEUlT_E1_NS1_11comp_targetILNS1_3genE5ELNS1_11target_archE942ELNS1_3gpuE9ELNS1_3repE0EEENS1_30default_config_static_selectorELNS0_4arch9wavefront6targetE1EEEvSP_
                                        ; -- End function
	.section	.AMDGPU.csdata,"",@progbits
; Kernel info:
; codeLenInByte = 0
; NumSgprs: 4
; NumVgprs: 0
; NumAgprs: 0
; TotalNumVgprs: 0
; ScratchSize: 0
; MemoryBound: 0
; FloatMode: 240
; IeeeMode: 1
; LDSByteSize: 0 bytes/workgroup (compile time only)
; SGPRBlocks: 0
; VGPRBlocks: 0
; NumSGPRsForWavesPerEU: 4
; NumVGPRsForWavesPerEU: 1
; AccumOffset: 4
; Occupancy: 8
; WaveLimiterHint : 0
; COMPUTE_PGM_RSRC2:SCRATCH_EN: 0
; COMPUTE_PGM_RSRC2:USER_SGPR: 6
; COMPUTE_PGM_RSRC2:TRAP_HANDLER: 0
; COMPUTE_PGM_RSRC2:TGID_X_EN: 1
; COMPUTE_PGM_RSRC2:TGID_Y_EN: 0
; COMPUTE_PGM_RSRC2:TGID_Z_EN: 0
; COMPUTE_PGM_RSRC2:TIDIG_COMP_CNT: 0
; COMPUTE_PGM_RSRC3_GFX90A:ACCUM_OFFSET: 0
; COMPUTE_PGM_RSRC3_GFX90A:TG_SPLIT: 0
	.section	.text._ZN7rocprim17ROCPRIM_400000_NS6detail17trampoline_kernelINS0_14default_configENS1_22reduce_config_selectorIiEEZNS1_11reduce_implILb1ES3_N6thrust23THRUST_200600_302600_NS11hip_rocprim35transform_pair_of_input_iterators_tIiNS8_6detail15normal_iteratorINS8_10device_ptrIKcEEEESG_13is_word_startEEPiiNS8_4plusIiEEEE10hipError_tPvRmT1_T2_T3_mT4_P12ihipStream_tbEUlT_E1_NS1_11comp_targetILNS1_3genE4ELNS1_11target_archE910ELNS1_3gpuE8ELNS1_3repE0EEENS1_30default_config_static_selectorELNS0_4arch9wavefront6targetE1EEEvSP_,"axG",@progbits,_ZN7rocprim17ROCPRIM_400000_NS6detail17trampoline_kernelINS0_14default_configENS1_22reduce_config_selectorIiEEZNS1_11reduce_implILb1ES3_N6thrust23THRUST_200600_302600_NS11hip_rocprim35transform_pair_of_input_iterators_tIiNS8_6detail15normal_iteratorINS8_10device_ptrIKcEEEESG_13is_word_startEEPiiNS8_4plusIiEEEE10hipError_tPvRmT1_T2_T3_mT4_P12ihipStream_tbEUlT_E1_NS1_11comp_targetILNS1_3genE4ELNS1_11target_archE910ELNS1_3gpuE8ELNS1_3repE0EEENS1_30default_config_static_selectorELNS0_4arch9wavefront6targetE1EEEvSP_,comdat
	.protected	_ZN7rocprim17ROCPRIM_400000_NS6detail17trampoline_kernelINS0_14default_configENS1_22reduce_config_selectorIiEEZNS1_11reduce_implILb1ES3_N6thrust23THRUST_200600_302600_NS11hip_rocprim35transform_pair_of_input_iterators_tIiNS8_6detail15normal_iteratorINS8_10device_ptrIKcEEEESG_13is_word_startEEPiiNS8_4plusIiEEEE10hipError_tPvRmT1_T2_T3_mT4_P12ihipStream_tbEUlT_E1_NS1_11comp_targetILNS1_3genE4ELNS1_11target_archE910ELNS1_3gpuE8ELNS1_3repE0EEENS1_30default_config_static_selectorELNS0_4arch9wavefront6targetE1EEEvSP_ ; -- Begin function _ZN7rocprim17ROCPRIM_400000_NS6detail17trampoline_kernelINS0_14default_configENS1_22reduce_config_selectorIiEEZNS1_11reduce_implILb1ES3_N6thrust23THRUST_200600_302600_NS11hip_rocprim35transform_pair_of_input_iterators_tIiNS8_6detail15normal_iteratorINS8_10device_ptrIKcEEEESG_13is_word_startEEPiiNS8_4plusIiEEEE10hipError_tPvRmT1_T2_T3_mT4_P12ihipStream_tbEUlT_E1_NS1_11comp_targetILNS1_3genE4ELNS1_11target_archE910ELNS1_3gpuE8ELNS1_3repE0EEENS1_30default_config_static_selectorELNS0_4arch9wavefront6targetE1EEEvSP_
	.globl	_ZN7rocprim17ROCPRIM_400000_NS6detail17trampoline_kernelINS0_14default_configENS1_22reduce_config_selectorIiEEZNS1_11reduce_implILb1ES3_N6thrust23THRUST_200600_302600_NS11hip_rocprim35transform_pair_of_input_iterators_tIiNS8_6detail15normal_iteratorINS8_10device_ptrIKcEEEESG_13is_word_startEEPiiNS8_4plusIiEEEE10hipError_tPvRmT1_T2_T3_mT4_P12ihipStream_tbEUlT_E1_NS1_11comp_targetILNS1_3genE4ELNS1_11target_archE910ELNS1_3gpuE8ELNS1_3repE0EEENS1_30default_config_static_selectorELNS0_4arch9wavefront6targetE1EEEvSP_
	.p2align	8
	.type	_ZN7rocprim17ROCPRIM_400000_NS6detail17trampoline_kernelINS0_14default_configENS1_22reduce_config_selectorIiEEZNS1_11reduce_implILb1ES3_N6thrust23THRUST_200600_302600_NS11hip_rocprim35transform_pair_of_input_iterators_tIiNS8_6detail15normal_iteratorINS8_10device_ptrIKcEEEESG_13is_word_startEEPiiNS8_4plusIiEEEE10hipError_tPvRmT1_T2_T3_mT4_P12ihipStream_tbEUlT_E1_NS1_11comp_targetILNS1_3genE4ELNS1_11target_archE910ELNS1_3gpuE8ELNS1_3repE0EEENS1_30default_config_static_selectorELNS0_4arch9wavefront6targetE1EEEvSP_,@function
_ZN7rocprim17ROCPRIM_400000_NS6detail17trampoline_kernelINS0_14default_configENS1_22reduce_config_selectorIiEEZNS1_11reduce_implILb1ES3_N6thrust23THRUST_200600_302600_NS11hip_rocprim35transform_pair_of_input_iterators_tIiNS8_6detail15normal_iteratorINS8_10device_ptrIKcEEEESG_13is_word_startEEPiiNS8_4plusIiEEEE10hipError_tPvRmT1_T2_T3_mT4_P12ihipStream_tbEUlT_E1_NS1_11comp_targetILNS1_3genE4ELNS1_11target_archE910ELNS1_3gpuE8ELNS1_3repE0EEENS1_30default_config_static_selectorELNS0_4arch9wavefront6targetE1EEEvSP_: ; @_ZN7rocprim17ROCPRIM_400000_NS6detail17trampoline_kernelINS0_14default_configENS1_22reduce_config_selectorIiEEZNS1_11reduce_implILb1ES3_N6thrust23THRUST_200600_302600_NS11hip_rocprim35transform_pair_of_input_iterators_tIiNS8_6detail15normal_iteratorINS8_10device_ptrIKcEEEESG_13is_word_startEEPiiNS8_4plusIiEEEE10hipError_tPvRmT1_T2_T3_mT4_P12ihipStream_tbEUlT_E1_NS1_11comp_targetILNS1_3genE4ELNS1_11target_archE910ELNS1_3gpuE8ELNS1_3repE0EEENS1_30default_config_static_selectorELNS0_4arch9wavefront6targetE1EEEvSP_
; %bb.0:
	s_load_dword s33, s[4:5], 0x4
	s_load_dwordx4 s[40:43], s[4:5], 0x8
	s_load_dwordx4 s[36:39], s[4:5], 0x20
	s_waitcnt lgkmcnt(0)
	s_cmp_lt_i32 s33, 8
	s_cbranch_scc1 .LBB29_11
; %bb.1:
	s_cmp_gt_i32 s33, 15
	s_cbranch_scc0 .LBB29_12
; %bb.2:
	s_cmp_gt_i32 s33, 31
	s_cbranch_scc0 .LBB29_13
; %bb.3:
	s_cmp_eq_u32 s33, 32
	s_mov_b64 s[0:1], 0
	s_cbranch_scc0 .LBB29_14
; %bb.4:
	s_lshl_b32 s50, s6, 12
	s_lshr_b64 s[10:11], s[36:37], 12
	s_add_u32 s2, s40, s50
	s_addc_u32 s3, s41, 0
	s_add_u32 s8, s42, s50
	s_mov_b32 s7, 0
	s_addc_u32 s9, s43, 0
	s_cmp_lg_u64 s[10:11], s[6:7]
	s_cbranch_scc0 .LBB29_23
; %bb.5:
	global_load_ubyte v1, v0, s[8:9]
	global_load_ubyte v2, v0, s[2:3]
	global_load_ubyte v3, v0, s[8:9] offset:128
	global_load_ubyte v4, v0, s[2:3] offset:128
	;; [unrolled: 1-line block ×37, first 2 shown]
	v_mov_b32_e32 v23, 58
	s_movk_i32 s51, 0xc6
	s_waitcnt vmcnt(38)
	v_add_u16_e32 v1, 0xffbf, v1
	s_waitcnt vmcnt(37)
	v_add_u16_e32 v2, 0xff85, v2
	v_cmp_lt_u16_sdwa s[26:27], v1, v23 src0_sel:BYTE_0 src1_sel:DWORD
	v_cmp_lt_u16_sdwa s[28:29], v2, s51 src0_sel:BYTE_0 src1_sel:DWORD
	s_waitcnt vmcnt(34)
	v_add_u16_e32 v5, 0xffbf, v5
	s_waitcnt vmcnt(33)
	v_add_u16_e32 v6, 0xff85, v6
	v_cmp_lt_u16_sdwa s[30:31], v5, v23 src0_sel:BYTE_0 src1_sel:DWORD
	v_cmp_lt_u16_sdwa s[34:35], v6, s51 src0_sel:BYTE_0 src1_sel:DWORD
	s_waitcnt vmcnt(30)
	v_add_u16_e32 v9, 0xffbf, v9
	s_waitcnt vmcnt(29)
	v_add_u16_e32 v10, 0xff85, v10
	s_and_b64 s[26:27], s[26:27], s[28:29]
	v_cmp_lt_u16_sdwa s[44:45], v9, v23 src0_sel:BYTE_0 src1_sel:DWORD
	s_waitcnt vmcnt(26)
	v_add_u16_e32 v13, 0xffbf, v13
	s_waitcnt vmcnt(25)
	v_add_u16_e32 v14, 0xff85, v14
	v_cmp_lt_u16_sdwa s[46:47], v10, s51 src0_sel:BYTE_0 src1_sel:DWORD
	v_cndmask_b32_e64 v1, 0, 1, s[26:27]
	s_and_b64 s[26:27], s[30:31], s[34:35]
	v_add_u16_e32 v3, 0xffbf, v3
	v_cmp_lt_u16_sdwa s[48:49], v13, v23 src0_sel:BYTE_0 src1_sel:DWORD
	v_cmp_lt_u16_sdwa s[52:53], v14, s51 src0_sel:BYTE_0 src1_sel:DWORD
	v_cndmask_b32_e64 v2, 0, 1, s[26:27]
	s_and_b64 s[26:27], s[44:45], s[46:47]
	v_add_u16_e32 v4, 0xff85, v4
	v_add_u16_e32 v7, 0xffbf, v7
	s_waitcnt vmcnt(22)
	v_add_u16_e32 v17, 0xffbf, v17
	v_cmp_lt_u16_sdwa s[10:11], v3, v23 src0_sel:BYTE_0 src1_sel:DWORD
	v_cndmask_b32_e64 v3, 0, 1, s[26:27]
	s_and_b64 s[26:27], s[48:49], s[52:53]
	s_waitcnt vmcnt(21)
	v_add_u16_e32 v5, 0xff85, v18
	v_cmp_lt_u16_sdwa s[12:13], v4, s51 src0_sel:BYTE_0 src1_sel:DWORD
	v_cmp_lt_u16_sdwa s[14:15], v7, v23 src0_sel:BYTE_0 src1_sel:DWORD
	v_cmp_lt_u16_sdwa s[54:55], v17, v23 src0_sel:BYTE_0 src1_sel:DWORD
	v_cndmask_b32_e64 v4, 0, 1, s[26:27]
	global_load_ubyte v6, v0, s[2:3] offset:2432
	v_cmp_lt_u16_sdwa s[26:27], v5, s51 src0_sel:BYTE_0 src1_sel:DWORD
	global_load_ubyte v5, v0, s[8:9] offset:2560
	global_load_ubyte v7, v0, s[2:3] offset:2560
	v_add_u16_e32 v8, 0xff85, v8
	s_and_b64 s[26:27], s[54:55], s[26:27]
	s_waitcnt vmcnt(23)
	v_add_u16_e32 v9, 0xffbf, v19
	v_add_u16_e32 v11, 0xffbf, v11
	v_cmp_lt_u16_sdwa s[16:17], v8, s51 src0_sel:BYTE_0 src1_sel:DWORD
	v_cndmask_b32_e64 v8, 0, 1, s[26:27]
	v_cmp_lt_u16_sdwa s[26:27], v9, v23 src0_sel:BYTE_0 src1_sel:DWORD
	global_load_ubyte v9, v0, s[8:9] offset:2688
	v_cmp_lt_u16_sdwa s[18:19], v11, v23 src0_sel:BYTE_0 src1_sel:DWORD
	s_waitcnt vmcnt(23)
	v_add_u16_e32 v10, 0xff85, v20
	global_load_ubyte v11, v0, s[2:3] offset:2688
	v_cmp_lt_u16_sdwa s[28:29], v10, s51 src0_sel:BYTE_0 src1_sel:DWORD
	global_load_ubyte v10, v0, s[8:9] offset:2816
	global_load_ubyte v13, v0, s[2:3] offset:2816
	v_add_u16_e32 v12, 0xff85, v12
	v_cmp_lt_u16_sdwa s[20:21], v12, s51 src0_sel:BYTE_0 src1_sel:DWORD
	s_waitcnt vmcnt(25)
	v_add_u16_e32 v12, 0xffbf, v21
	v_cmp_lt_u16_sdwa s[30:31], v12, v23 src0_sel:BYTE_0 src1_sel:DWORD
	s_waitcnt vmcnt(24)
	v_add_u16_e32 v12, 0xff85, v22
	v_add_u16_e32 v16, 0xff85, v16
	v_cmp_lt_u16_sdwa s[34:35], v12, s51 src0_sel:BYTE_0 src1_sel:DWORD
	global_load_ubyte v12, v0, s[8:9] offset:2944
	global_load_ubyte v14, v0, s[2:3] offset:2944
	v_cmp_lt_u16_sdwa s[24:25], v16, s51 src0_sel:BYTE_0 src1_sel:DWORD
	global_load_ubyte v16, v0, s[8:9] offset:3072
	v_add_u16_e32 v15, 0xffbf, v15
	s_and_b64 s[30:31], s[30:31], s[34:35]
	s_waitcnt vmcnt(26)
	v_add_u16_e32 v17, 0xffbf, v24
	global_load_ubyte v18, v0, s[2:3] offset:3072
	global_load_ubyte v20, v0, s[2:3] offset:3200
	global_load_ubyte v22, v0, s[2:3] offset:3328
	v_cmp_lt_u16_sdwa s[22:23], v15, v23 src0_sel:BYTE_0 src1_sel:DWORD
	v_cndmask_b32_e64 v15, 0, 1, s[30:31]
	v_cmp_lt_u16_sdwa s[30:31], v17, v23 src0_sel:BYTE_0 src1_sel:DWORD
	s_waitcnt vmcnt(28)
	v_add_u16_e32 v17, 0xff85, v25
	v_cmp_lt_u16_sdwa s[34:35], v17, s51 src0_sel:BYTE_0 src1_sel:DWORD
	global_load_ubyte v17, v0, s[8:9] offset:3200
	s_waitcnt vmcnt(24)
	v_add_u16_e32 v19, 0xffbf, v30
	v_cmp_lt_u16_sdwa s[44:45], v19, v23 src0_sel:BYTE_0 src1_sel:DWORD
	global_load_ubyte v19, v0, s[8:9] offset:3328
	global_load_ubyte v24, v0, s[8:9] offset:3456
	v_add_u16_e32 v21, 0xff85, v26
	v_cmp_lt_u16_sdwa s[46:47], v21, s51 src0_sel:BYTE_0 src1_sel:DWORD
	s_and_b64 s[44:45], s[44:45], s[46:47]
	s_waitcnt vmcnt(25)
	v_add_u16_e32 v25, 0xffbf, v31
	global_load_ubyte v26, v0, s[2:3] offset:3456
	global_load_ubyte v30, v0, s[2:3] offset:3584
	;; [unrolled: 1-line block ×3, first 2 shown]
	v_cndmask_b32_e64 v21, 0, 1, s[44:45]
	v_cmp_lt_u16_sdwa s[44:45], v25, v23 src0_sel:BYTE_0 src1_sel:DWORD
	global_load_ubyte v25, v0, s[8:9] offset:3584
	v_add_u16_e32 v27, 0xff85, v27
	v_cmp_lt_u16_sdwa s[46:47], v27, s51 src0_sel:BYTE_0 src1_sel:DWORD
	s_waitcnt vmcnt(28)
	v_add_u16_e32 v27, 0xffbf, v32
	v_cmp_lt_u16_sdwa s[48:49], v27, v23 src0_sel:BYTE_0 src1_sel:DWORD
	global_load_ubyte v27, v0, s[8:9] offset:3712
	v_add_u16_e32 v28, 0xff85, v28
	v_cmp_lt_u16_sdwa s[52:53], v28, s51 src0_sel:BYTE_0 src1_sel:DWORD
	global_load_ubyte v28, v0, s[8:9] offset:3840
	global_load_ubyte v32, v0, s[2:3] offset:3840
	s_and_b64 s[48:49], s[48:49], s[52:53]
	s_waitcnt vmcnt(30)
	v_add_u16_e32 v33, 0xffbf, v33
	v_cndmask_b32_e64 v41, 0, 1, s[48:49]
	v_cmp_lt_u16_sdwa s[48:49], v33, v23 src0_sel:BYTE_0 src1_sel:DWORD
	global_load_ubyte v33, v0, s[8:9] offset:3968
	global_load_ubyte v42, v0, s[2:3] offset:3968
	v_add_u16_e32 v29, 0xff85, v29
	v_cmp_lt_u16_sdwa s[52:53], v29, s51 src0_sel:BYTE_0 src1_sel:DWORD
	s_waitcnt vmcnt(28)
	v_add_u16_e32 v29, 0xffbf, v37
	v_cmp_lt_u16_sdwa s[54:55], v29, v23 src0_sel:BYTE_0 src1_sel:DWORD
	v_add_u16_e32 v29, 0xff85, v34
	v_cmp_lt_u16_sdwa s[56:57], v29, s51 src0_sel:BYTE_0 src1_sel:DWORD
	s_and_b64 s[54:55], s[54:55], s[56:57]
	s_waitcnt vmcnt(27)
	v_add_u16_e32 v34, 0xffbf, v38
	v_cndmask_b32_e64 v29, 0, 1, s[54:55]
	v_cmp_lt_u16_sdwa s[54:55], v34, v23 src0_sel:BYTE_0 src1_sel:DWORD
	v_add_u16_e32 v34, 0xff85, v35
	v_cmp_lt_u16_sdwa s[56:57], v34, s51 src0_sel:BYTE_0 src1_sel:DWORD
	s_waitcnt vmcnt(26)
	v_add_u16_e32 v34, 0xffbf, v39
	v_cmp_lt_u16_sdwa s[58:59], v34, v23 src0_sel:BYTE_0 src1_sel:DWORD
	s_waitcnt vmcnt(23)
	v_add_u16_e32 v5, 0xffbf, v5
	v_add_u16_e32 v34, 0xff85, v36
	v_cmp_lt_u16_sdwa s[62:63], v5, v23 src0_sel:BYTE_0 src1_sel:DWORD
	s_waitcnt vmcnt(22)
	v_add_u16_e32 v5, 0xff85, v7
	s_and_b64 vcc, s[10:11], s[12:13]
	v_cmp_lt_u16_sdwa s[60:61], v34, s51 src0_sel:BYTE_0 src1_sel:DWORD
	v_add_u16_e32 v6, 0xff85, v6
	v_cmp_lt_u16_sdwa s[64:65], v5, s51 src0_sel:BYTE_0 src1_sel:DWORD
	v_addc_co_u32_e32 v1, vcc, 0, v1, vcc
	s_and_b64 s[58:59], s[58:59], s[60:61]
	v_cmp_lt_u16_sdwa s[60:61], v6, s51 src0_sel:BYTE_0 src1_sel:DWORD
	s_and_b64 s[62:63], s[62:63], s[64:65]
	s_waitcnt vmcnt(21)
	v_add_u16_e32 v6, 0xffbf, v9
	s_and_b64 vcc, s[14:15], s[16:17]
	v_cndmask_b32_e64 v5, 0, 1, s[62:63]
	v_cmp_lt_u16_sdwa s[62:63], v6, v23 src0_sel:BYTE_0 src1_sel:DWORD
	s_waitcnt vmcnt(20)
	v_add_u16_e32 v6, 0xff85, v11
	v_addc_co_u32_e32 v1, vcc, v1, v2, vcc
	v_cmp_lt_u16_sdwa s[64:65], v6, s51 src0_sel:BYTE_0 src1_sel:DWORD
	s_waitcnt vmcnt(19)
	v_add_u16_e32 v6, 0xffbf, v10
	s_and_b64 vcc, s[18:19], s[20:21]
	v_cmp_lt_u16_sdwa s[66:67], v6, v23 src0_sel:BYTE_0 src1_sel:DWORD
	s_waitcnt vmcnt(18)
	v_add_u16_e32 v6, 0xff85, v13
	v_addc_co_u32_e32 v1, vcc, v1, v3, vcc
	v_cmp_lt_u16_sdwa s[68:69], v6, s51 src0_sel:BYTE_0 src1_sel:DWORD
	s_and_b64 vcc, s[22:23], s[24:25]
	s_and_b64 s[66:67], s[66:67], s[68:69]
	s_waitcnt vmcnt(17)
	v_add_u16_e32 v7, 0xffbf, v12
	v_addc_co_u32_e32 v1, vcc, v1, v4, vcc
	v_cndmask_b32_e64 v6, 0, 1, s[66:67]
	v_cmp_lt_u16_sdwa s[66:67], v7, v23 src0_sel:BYTE_0 src1_sel:DWORD
	s_waitcnt vmcnt(16)
	v_add_u16_e32 v7, 0xff85, v14
	s_and_b64 vcc, s[26:27], s[28:29]
	v_cmp_lt_u16_sdwa s[68:69], v7, s51 src0_sel:BYTE_0 src1_sel:DWORD
	s_waitcnt vmcnt(15)
	v_add_u16_e32 v7, 0xffbf, v16
	v_addc_co_u32_e32 v1, vcc, v1, v8, vcc
	v_cmp_lt_u16_sdwa s[70:71], v7, v23 src0_sel:BYTE_0 src1_sel:DWORD
	s_waitcnt vmcnt(14)
	v_add_u16_e32 v7, 0xff85, v18
	s_and_b64 vcc, s[30:31], s[34:35]
	v_cmp_lt_u16_sdwa s[72:73], v7, s51 src0_sel:BYTE_0 src1_sel:DWORD
	v_addc_co_u32_e32 v1, vcc, v1, v15, vcc
	s_and_b64 s[70:71], s[70:71], s[72:73]
	s_waitcnt vmcnt(11)
	v_add_u16_e32 v9, 0xffbf, v17
	s_and_b64 vcc, s[44:45], s[46:47]
	v_cndmask_b32_e64 v7, 0, 1, s[70:71]
	v_cmp_lt_u16_sdwa s[70:71], v9, v23 src0_sel:BYTE_0 src1_sel:DWORD
	v_add_u16_e32 v9, 0xff85, v20
	v_addc_co_u32_e32 v1, vcc, v1, v21, vcc
	v_cmp_lt_u16_sdwa s[72:73], v9, s51 src0_sel:BYTE_0 src1_sel:DWORD
	s_waitcnt vmcnt(10)
	v_add_u16_e32 v9, 0xffbf, v19
	s_and_b64 vcc, s[48:49], s[52:53]
	v_cmp_lt_u16_sdwa s[74:75], v9, v23 src0_sel:BYTE_0 src1_sel:DWORD
	v_add_u16_e32 v9, 0xff85, v22
	v_addc_co_u32_e32 v1, vcc, v1, v41, vcc
	v_add_u16_e32 v35, 0xffbf, v40
	v_cmp_lt_u16_sdwa s[76:77], v9, s51 src0_sel:BYTE_0 src1_sel:DWORD
	s_and_b64 vcc, s[54:55], s[56:57]
	v_cndmask_b32_e64 v34, 0, 1, s[58:59]
	v_cmp_lt_u16_sdwa s[58:59], v35, v23 src0_sel:BYTE_0 src1_sel:DWORD
	s_and_b64 s[74:75], s[74:75], s[76:77]
	s_waitcnt vmcnt(9)
	v_add_u16_e32 v10, 0xffbf, v24
	v_addc_co_u32_e32 v1, vcc, v1, v29, vcc
	v_cndmask_b32_e64 v9, 0, 1, s[74:75]
	v_cmp_lt_u16_sdwa s[74:75], v10, v23 src0_sel:BYTE_0 src1_sel:DWORD
	s_waitcnt vmcnt(8)
	v_add_u16_e32 v10, 0xff85, v26
	s_and_b64 vcc, s[58:59], s[60:61]
	v_cmp_lt_u16_sdwa s[76:77], v10, s51 src0_sel:BYTE_0 src1_sel:DWORD
	s_waitcnt vmcnt(5)
	v_add_u16_e32 v10, 0xffbf, v25
	v_addc_co_u32_e32 v1, vcc, v1, v34, vcc
	v_cmp_lt_u16_sdwa s[78:79], v10, v23 src0_sel:BYTE_0 src1_sel:DWORD
	v_add_u16_e32 v10, 0xff85, v30
	s_and_b64 vcc, s[62:63], s[64:65]
	v_cmp_lt_u16_sdwa s[80:81], v10, s51 src0_sel:BYTE_0 src1_sel:DWORD
	v_addc_co_u32_e32 v1, vcc, v1, v5, vcc
	s_and_b64 s[78:79], s[78:79], s[80:81]
	s_waitcnt vmcnt(4)
	v_add_u16_e32 v11, 0xffbf, v27
	s_and_b64 vcc, s[66:67], s[68:69]
	v_cndmask_b32_e64 v10, 0, 1, s[78:79]
	v_cmp_lt_u16_sdwa s[78:79], v11, v23 src0_sel:BYTE_0 src1_sel:DWORD
	v_add_u16_e32 v11, 0xff85, v31
	v_addc_co_u32_e32 v1, vcc, v1, v6, vcc
	v_cmp_lt_u16_sdwa s[80:81], v11, s51 src0_sel:BYTE_0 src1_sel:DWORD
	s_waitcnt vmcnt(3)
	v_add_u16_e32 v11, 0xffbf, v28
	s_and_b64 vcc, s[70:71], s[72:73]
	v_cmp_lt_u16_sdwa s[82:83], v11, v23 src0_sel:BYTE_0 src1_sel:DWORD
	s_waitcnt vmcnt(2)
	v_add_u16_e32 v11, 0xff85, v32
	v_addc_co_u32_e32 v1, vcc, v1, v7, vcc
	v_cmp_lt_u16_sdwa s[84:85], v11, s51 src0_sel:BYTE_0 src1_sel:DWORD
	s_and_b64 vcc, s[74:75], s[76:77]
	s_and_b64 s[82:83], s[82:83], s[84:85]
	s_waitcnt vmcnt(1)
	v_add_u16_e32 v12, 0xffbf, v33
	v_addc_co_u32_e32 v1, vcc, v1, v9, vcc
	v_cndmask_b32_e64 v11, 0, 1, s[82:83]
	v_cmp_lt_u16_sdwa s[82:83], v12, v23 src0_sel:BYTE_0 src1_sel:DWORD
	s_waitcnt vmcnt(0)
	v_add_u16_e32 v12, 0xff85, v42
	s_and_b64 vcc, s[78:79], s[80:81]
	v_cmp_lt_u16_sdwa s[84:85], v12, s51 src0_sel:BYTE_0 src1_sel:DWORD
	v_addc_co_u32_e32 v1, vcc, v1, v10, vcc
	s_and_b64 vcc, s[82:83], s[84:85]
	v_addc_co_u32_e32 v1, vcc, v1, v11, vcc
	v_mbcnt_lo_u32_b32 v2, -1, 0
	s_nop 0
	v_add_u32_dpp v1, v1, v1 quad_perm:[1,0,3,2] row_mask:0xf bank_mask:0xf bound_ctrl:1
	v_mbcnt_hi_u32_b32 v2, -1, v2
	v_lshlrev_b32_e32 v3, 2, v2
	v_add_u32_dpp v1, v1, v1 quad_perm:[2,3,0,1] row_mask:0xf bank_mask:0xf bound_ctrl:1
	v_or_b32_e32 v4, 0xfc, v3
	v_cmp_eq_u32_e32 vcc, 0, v2
	v_add_u32_dpp v1, v1, v1 row_ror:4 row_mask:0xf bank_mask:0xf bound_ctrl:1
	s_nop 1
	v_add_u32_dpp v1, v1, v1 row_ror:8 row_mask:0xf bank_mask:0xf bound_ctrl:1
	s_nop 1
	v_add_u32_dpp v1, v1, v1 row_bcast:15 row_mask:0xf bank_mask:0xf bound_ctrl:1
	s_nop 1
	v_add_u32_dpp v1, v1, v1 row_bcast:31 row_mask:0xf bank_mask:0xf bound_ctrl:1
	ds_bpermute_b32 v1, v4, v1
	s_and_saveexec_b64 s[10:11], vcc
	s_cbranch_execz .LBB29_7
; %bb.6:
	v_lshrrev_b32_e32 v4, 4, v0
	v_and_b32_e32 v4, 4, v4
	s_waitcnt lgkmcnt(0)
	ds_write_b32 v4, v1 offset:24
.LBB29_7:
	s_or_b64 exec, exec, s[10:11]
	v_cmp_gt_u32_e32 vcc, 64, v0
	s_waitcnt lgkmcnt(0)
	s_barrier
	s_and_saveexec_b64 s[10:11], vcc
	s_cbranch_execz .LBB29_9
; %bb.8:
	v_and_b32_e32 v1, 1, v2
	v_lshlrev_b32_e32 v1, 2, v1
	ds_read_b32 v1, v1 offset:24
	v_or_b32_e32 v2, 4, v3
	s_waitcnt lgkmcnt(0)
	ds_bpermute_b32 v2, v2, v1
	s_waitcnt lgkmcnt(0)
	v_add_u32_e32 v1, v2, v1
.LBB29_9:
	s_or_b64 exec, exec, s[10:11]
.LBB29_10:
	v_cmp_eq_u32_e64 s[2:3], 0, v0
	s_and_b64 vcc, exec, s[0:1]
	s_cbranch_vccnz .LBB29_15
	s_branch .LBB29_93
.LBB29_11:
	s_mov_b64 s[2:3], 0
                                        ; implicit-def: $vgpr1
	s_cbranch_execnz .LBB29_166
	s_branch .LBB29_224
.LBB29_12:
	s_mov_b64 s[2:3], 0
                                        ; implicit-def: $vgpr1
	s_cbranch_execnz .LBB29_134
	s_branch .LBB29_142
.LBB29_13:
	s_mov_b64 s[0:1], -1
.LBB29_14:
	s_mov_b64 s[2:3], 0
                                        ; implicit-def: $vgpr1
	s_and_b64 vcc, exec, s[0:1]
	s_cbranch_vccz .LBB29_93
.LBB29_15:
	s_cmp_eq_u32 s33, 16
	s_cbranch_scc0 .LBB29_22
; %bb.16:
	s_lshl_b32 s2, s6, 11
	s_lshr_b64 s[0:1], s[36:37], 11
	s_add_u32 s34, s40, s2
	s_addc_u32 s35, s41, 0
	s_add_u32 s44, s42, s2
	s_mov_b32 s7, 0
	s_addc_u32 s45, s43, 0
	s_cmp_lg_u64 s[0:1], s[6:7]
	s_cbranch_scc0 .LBB29_94
; %bb.17:
	global_load_ubyte v1, v0, s[44:45]
	global_load_ubyte v2, v0, s[34:35]
	global_load_ubyte v3, v0, s[44:45] offset:128
	global_load_ubyte v4, v0, s[34:35] offset:128
	;; [unrolled: 1-line block ×30, first 2 shown]
	v_mov_b32_e32 v32, 58
	s_movk_i32 s3, 0xc6
	s_waitcnt vmcnt(31)
	v_add_u16_e32 v1, 0xffbf, v1
	s_waitcnt vmcnt(30)
	v_add_u16_e32 v2, 0xff85, v2
	;; [unrolled: 2-line block ×6, first 2 shown]
	v_cmp_lt_u16_sdwa s[0:1], v1, v32 src0_sel:BYTE_0 src1_sel:DWORD
	v_cmp_lt_u16_sdwa s[8:9], v2, s3 src0_sel:BYTE_0 src1_sel:DWORD
	;; [unrolled: 1-line block ×6, first 2 shown]
	s_and_b64 s[0:1], s[0:1], s[8:9]
	s_waitcnt vmcnt(25)
	v_add_u16_e32 v7, 0xffbf, v7
	s_waitcnt vmcnt(24)
	v_add_u16_e32 v8, 0xff85, v8
	v_cndmask_b32_e64 v1, 0, 1, s[0:1]
	s_and_b64 s[0:1], s[14:15], s[16:17]
	s_and_b64 vcc, s[10:11], s[12:13]
	s_waitcnt vmcnt(23)
	v_add_u16_e32 v9, 0xffbf, v9
	s_waitcnt vmcnt(22)
	v_add_u16_e32 v10, 0xff85, v10
	;; [unrolled: 2-line block ×3, first 2 shown]
	v_cmp_lt_u16_sdwa s[8:9], v6, v32 src0_sel:BYTE_0 src1_sel:DWORD
	s_waitcnt vmcnt(10)
	v_add_u16_e32 v6, 0xff85, v22
	v_cmp_lt_u16_sdwa s[14:15], v6, s3 src0_sel:BYTE_0 src1_sel:DWORD
	v_cmp_lt_u16_sdwa s[18:19], v7, v32 src0_sel:BYTE_0 src1_sel:DWORD
	;; [unrolled: 1-line block ×3, first 2 shown]
	s_and_b64 s[8:9], s[8:9], s[14:15]
	s_waitcnt vmcnt(9)
	v_add_u16_e32 v7, 0xffbf, v23
	v_addc_co_u32_e32 v1, vcc, 0, v1, vcc
	v_add_u16_e32 v11, 0xffbf, v11
	v_add_u16_e32 v12, 0xff85, v12
	v_cmp_lt_u16_sdwa s[22:23], v9, v32 src0_sel:BYTE_0 src1_sel:DWORD
	v_cmp_lt_u16_sdwa s[24:25], v10, s3 src0_sel:BYTE_0 src1_sel:DWORD
	v_cndmask_b32_e64 v2, 0, 1, s[0:1]
	v_cndmask_b32_e64 v6, 0, 1, s[8:9]
	v_cmp_lt_u16_sdwa s[8:9], v7, v32 src0_sel:BYTE_0 src1_sel:DWORD
	s_waitcnt vmcnt(8)
	v_add_u16_e32 v7, 0xff85, v24
	s_and_b64 vcc, s[18:19], s[20:21]
	v_add_u16_e32 v13, 0xffbf, v13
	v_add_u16_e32 v14, 0xff85, v14
	v_cmp_lt_u16_sdwa s[26:27], v11, v32 src0_sel:BYTE_0 src1_sel:DWORD
	v_cmp_lt_u16_sdwa s[28:29], v12, s3 src0_sel:BYTE_0 src1_sel:DWORD
	s_and_b64 s[0:1], s[22:23], s[24:25]
	v_cmp_lt_u16_sdwa s[14:15], v7, s3 src0_sel:BYTE_0 src1_sel:DWORD
	s_waitcnt vmcnt(7)
	v_add_u16_e32 v7, 0xffbf, v25
	v_addc_co_u32_e32 v1, vcc, v1, v2, vcc
	v_add_u16_e32 v15, 0xffbf, v15
	v_add_u16_e32 v16, 0xff85, v16
	;; [unrolled: 1-line block ×4, first 2 shown]
	v_cmp_lt_u16_sdwa s[30:31], v13, v32 src0_sel:BYTE_0 src1_sel:DWORD
	v_cmp_lt_u16_sdwa s[46:47], v14, s3 src0_sel:BYTE_0 src1_sel:DWORD
	v_cndmask_b32_e64 v3, 0, 1, s[0:1]
	v_cmp_lt_u16_sdwa s[16:17], v7, v32 src0_sel:BYTE_0 src1_sel:DWORD
	s_waitcnt vmcnt(6)
	v_add_u16_e32 v7, 0xff85, v26
	s_and_b64 vcc, s[26:27], s[28:29]
	v_cmp_lt_u16_sdwa s[48:49], v15, v32 src0_sel:BYTE_0 src1_sel:DWORD
	v_cmp_lt_u16_sdwa s[50:51], v16, s3 src0_sel:BYTE_0 src1_sel:DWORD
	;; [unrolled: 1-line block ×4, first 2 shown]
	s_and_b64 s[0:1], s[30:31], s[46:47]
	v_cmp_lt_u16_sdwa s[22:23], v7, s3 src0_sel:BYTE_0 src1_sel:DWORD
	v_addc_co_u32_e32 v1, vcc, v1, v3, vcc
	v_add_u16_e32 v19, 0xffbf, v19
	v_add_u16_e32 v20, 0xff85, v20
	v_cndmask_b32_e64 v4, 0, 1, s[0:1]
	s_and_b64 s[0:1], s[52:53], s[54:55]
	s_and_b64 s[16:17], s[16:17], s[22:23]
	s_waitcnt vmcnt(5)
	v_add_u16_e32 v8, 0xffbf, v27
	s_and_b64 vcc, s[48:49], s[50:51]
	v_cmp_lt_u16_sdwa s[56:57], v19, v32 src0_sel:BYTE_0 src1_sel:DWORD
	v_cndmask_b32_e64 v5, 0, 1, s[0:1]
	v_cmp_lt_u16_sdwa s[0:1], v20, s3 src0_sel:BYTE_0 src1_sel:DWORD
	v_cndmask_b32_e64 v7, 0, 1, s[16:17]
	v_cmp_lt_u16_sdwa s[16:17], v8, v32 src0_sel:BYTE_0 src1_sel:DWORD
	s_waitcnt vmcnt(4)
	v_add_u16_e32 v8, 0xff85, v28
	v_addc_co_u32_e32 v1, vcc, v1, v4, vcc
	v_cmp_lt_u16_sdwa s[22:23], v8, s3 src0_sel:BYTE_0 src1_sel:DWORD
	s_waitcnt vmcnt(3)
	v_add_u16_e32 v8, 0xffbf, v29
	s_and_b64 vcc, s[56:57], s[0:1]
	v_cmp_lt_u16_sdwa s[24:25], v8, v32 src0_sel:BYTE_0 src1_sel:DWORD
	s_waitcnt vmcnt(2)
	v_add_u16_e32 v8, 0xff85, v30
	v_addc_co_u32_e32 v1, vcc, v1, v5, vcc
	v_cmp_lt_u16_sdwa s[30:31], v8, s3 src0_sel:BYTE_0 src1_sel:DWORD
	s_and_b64 vcc, s[8:9], s[14:15]
	s_and_b64 s[24:25], s[24:25], s[30:31]
	s_waitcnt vmcnt(1)
	v_add_u16_e32 v9, 0xffbf, v31
	v_addc_co_u32_e32 v1, vcc, v1, v6, vcc
	v_cndmask_b32_e64 v8, 0, 1, s[24:25]
	v_cmp_lt_u16_sdwa s[24:25], v9, v32 src0_sel:BYTE_0 src1_sel:DWORD
	s_waitcnt vmcnt(0)
	v_add_u16_e32 v9, 0xff85, v33
	s_and_b64 vcc, s[16:17], s[22:23]
	v_cmp_lt_u16_sdwa s[30:31], v9, s3 src0_sel:BYTE_0 src1_sel:DWORD
	v_addc_co_u32_e32 v1, vcc, v1, v7, vcc
	s_and_b64 vcc, s[24:25], s[30:31]
	v_addc_co_u32_e32 v1, vcc, v1, v8, vcc
	v_mbcnt_lo_u32_b32 v2, -1, 0
	s_nop 0
	v_add_u32_dpp v1, v1, v1 quad_perm:[1,0,3,2] row_mask:0xf bank_mask:0xf bound_ctrl:1
	v_mbcnt_hi_u32_b32 v2, -1, v2
	v_lshlrev_b32_e32 v3, 2, v2
	v_add_u32_dpp v1, v1, v1 quad_perm:[2,3,0,1] row_mask:0xf bank_mask:0xf bound_ctrl:1
	v_or_b32_e32 v4, 0xfc, v3
	v_cmp_eq_u32_e32 vcc, 0, v2
	v_add_u32_dpp v1, v1, v1 row_ror:4 row_mask:0xf bank_mask:0xf bound_ctrl:1
	s_nop 1
	v_add_u32_dpp v1, v1, v1 row_ror:8 row_mask:0xf bank_mask:0xf bound_ctrl:1
	s_nop 1
	v_add_u32_dpp v1, v1, v1 row_bcast:15 row_mask:0xf bank_mask:0xf bound_ctrl:1
	s_nop 1
	v_add_u32_dpp v1, v1, v1 row_bcast:31 row_mask:0xf bank_mask:0xf bound_ctrl:1
	ds_bpermute_b32 v1, v4, v1
	s_and_saveexec_b64 s[0:1], vcc
	s_cbranch_execz .LBB29_19
; %bb.18:
	v_lshrrev_b32_e32 v4, 4, v0
	v_and_b32_e32 v4, 4, v4
	s_waitcnt lgkmcnt(0)
	ds_write_b32 v4, v1
.LBB29_19:
	s_or_b64 exec, exec, s[0:1]
	v_cmp_gt_u32_e32 vcc, 64, v0
	s_waitcnt lgkmcnt(0)
	s_barrier
	s_and_saveexec_b64 s[0:1], vcc
	s_cbranch_execz .LBB29_21
; %bb.20:
	v_and_b32_e32 v1, 1, v2
	v_lshlrev_b32_e32 v1, 2, v1
	ds_read_b32 v1, v1
	v_or_b32_e32 v2, 4, v3
	s_waitcnt lgkmcnt(0)
	ds_bpermute_b32 v2, v2, v1
	s_waitcnt lgkmcnt(0)
	v_add_u32_e32 v1, v2, v1
.LBB29_21:
	s_or_b64 exec, exec, s[0:1]
	s_mov_b64 s[0:1], 0
	s_branch .LBB29_95
.LBB29_22:
                                        ; implicit-def: $vgpr1
	s_branch .LBB29_142
.LBB29_23:
                                        ; implicit-def: $vgpr1
	s_cbranch_execz .LBB29_10
; %bb.24:
	s_sub_i32 s12, s36, s50
	v_cmp_gt_u32_e32 vcc, s12, v0
                                        ; implicit-def: $vgpr1
	s_and_saveexec_b64 s[10:11], vcc
	s_cbranch_execz .LBB29_26
; %bb.25:
	global_load_ubyte v1, v0, s[8:9]
	global_load_ubyte v2, v0, s[2:3]
	v_mov_b32_e32 v3, 58
	s_movk_i32 s13, 0xc6
	s_waitcnt vmcnt(1)
	v_add_u16_e32 v1, 0xffbf, v1
	s_waitcnt vmcnt(0)
	v_add_u16_e32 v2, 0xff85, v2
	v_cmp_lt_u16_sdwa s[14:15], v1, v3 src0_sel:BYTE_0 src1_sel:DWORD
	v_cmp_lt_u16_sdwa s[16:17], v2, s13 src0_sel:BYTE_0 src1_sel:DWORD
	s_and_b64 s[14:15], s[14:15], s[16:17]
	v_cndmask_b32_e64 v1, 0, 1, s[14:15]
.LBB29_26:
	s_or_b64 exec, exec, s[10:11]
	v_or_b32_e32 v2, 0x80, v0
	v_cmp_gt_u32_e32 vcc, s12, v2
	v_mov_b32_e32 v2, 0
	v_mov_b32_e32 v3, 0
	s_and_saveexec_b64 s[10:11], vcc
	s_cbranch_execz .LBB29_28
; %bb.27:
	global_load_ubyte v3, v0, s[8:9] offset:128
	global_load_ubyte v4, v0, s[2:3] offset:128
	v_mov_b32_e32 v5, 58
	s_movk_i32 s13, 0xc6
	s_waitcnt vmcnt(1)
	v_add_u16_e32 v3, 0xffbf, v3
	s_waitcnt vmcnt(0)
	v_add_u16_e32 v4, 0xff85, v4
	v_cmp_lt_u16_sdwa s[14:15], v3, v5 src0_sel:BYTE_0 src1_sel:DWORD
	v_cmp_lt_u16_sdwa s[16:17], v4, s13 src0_sel:BYTE_0 src1_sel:DWORD
	s_and_b64 s[14:15], s[14:15], s[16:17]
	v_cndmask_b32_e64 v3, 0, 1, s[14:15]
.LBB29_28:
	s_or_b64 exec, exec, s[10:11]
	v_or_b32_e32 v4, 0x100, v0
	v_cmp_gt_u32_e32 vcc, s12, v4
	s_and_saveexec_b64 s[10:11], vcc
	s_cbranch_execz .LBB29_30
; %bb.29:
	global_load_ubyte v2, v0, s[8:9] offset:256
	global_load_ubyte v4, v0, s[2:3] offset:256
	v_mov_b32_e32 v5, 58
	s_movk_i32 s13, 0xc6
	s_waitcnt vmcnt(1)
	v_add_u16_e32 v2, 0xffbf, v2
	s_waitcnt vmcnt(0)
	v_add_u16_e32 v4, 0xff85, v4
	v_cmp_lt_u16_sdwa s[14:15], v2, v5 src0_sel:BYTE_0 src1_sel:DWORD
	v_cmp_lt_u16_sdwa s[16:17], v4, s13 src0_sel:BYTE_0 src1_sel:DWORD
	s_and_b64 s[14:15], s[14:15], s[16:17]
	v_cndmask_b32_e64 v2, 0, 1, s[14:15]
.LBB29_30:
	s_or_b64 exec, exec, s[10:11]
	v_or_b32_e32 v4, 0x180, v0
	v_cmp_gt_u32_e32 vcc, s12, v4
	v_mov_b32_e32 v4, 0
	v_mov_b32_e32 v5, 0
	s_and_saveexec_b64 s[10:11], vcc
	s_cbranch_execz .LBB29_32
; %bb.31:
	global_load_ubyte v5, v0, s[8:9] offset:384
	global_load_ubyte v6, v0, s[2:3] offset:384
	v_mov_b32_e32 v7, 58
	s_movk_i32 s13, 0xc6
	s_waitcnt vmcnt(1)
	v_add_u16_e32 v5, 0xffbf, v5
	s_waitcnt vmcnt(0)
	v_add_u16_e32 v6, 0xff85, v6
	v_cmp_lt_u16_sdwa s[14:15], v5, v7 src0_sel:BYTE_0 src1_sel:DWORD
	v_cmp_lt_u16_sdwa s[16:17], v6, s13 src0_sel:BYTE_0 src1_sel:DWORD
	s_and_b64 s[14:15], s[14:15], s[16:17]
	v_cndmask_b32_e64 v5, 0, 1, s[14:15]
.LBB29_32:
	s_or_b64 exec, exec, s[10:11]
	v_or_b32_e32 v6, 0x200, v0
	v_cmp_gt_u32_e32 vcc, s12, v6
	s_and_saveexec_b64 s[10:11], vcc
	s_cbranch_execz .LBB29_34
; %bb.33:
	global_load_ubyte v4, v0, s[8:9] offset:512
	global_load_ubyte v6, v0, s[2:3] offset:512
	v_mov_b32_e32 v7, 58
	s_movk_i32 s13, 0xc6
	s_waitcnt vmcnt(1)
	v_add_u16_e32 v4, 0xffbf, v4
	s_waitcnt vmcnt(0)
	v_add_u16_e32 v6, 0xff85, v6
	v_cmp_lt_u16_sdwa s[14:15], v4, v7 src0_sel:BYTE_0 src1_sel:DWORD
	v_cmp_lt_u16_sdwa s[16:17], v6, s13 src0_sel:BYTE_0 src1_sel:DWORD
	s_and_b64 s[14:15], s[14:15], s[16:17]
	v_cndmask_b32_e64 v4, 0, 1, s[14:15]
.LBB29_34:
	;; [unrolled: 40-line block ×15, first 2 shown]
	s_or_b64 exec, exec, s[10:11]
	v_or_b32_e32 v32, 0xf80, v0
	v_cmp_gt_u32_e32 vcc, s12, v32
	v_mov_b32_e32 v32, 0
	s_and_saveexec_b64 s[10:11], vcc
	s_cbranch_execz .LBB29_88
; %bb.87:
	global_load_ubyte v32, v0, s[8:9] offset:3968
	global_load_ubyte v33, v0, s[2:3] offset:3968
	v_mov_b32_e32 v34, 58
	s_movk_i32 s8, 0xc6
	s_waitcnt vmcnt(1)
	v_add_u16_e32 v32, 0xffbf, v32
	s_waitcnt vmcnt(0)
	v_add_u16_e32 v33, 0xff85, v33
	v_cmp_lt_u16_sdwa s[2:3], v32, v34 src0_sel:BYTE_0 src1_sel:DWORD
	v_cmp_lt_u16_sdwa s[8:9], v33, s8 src0_sel:BYTE_0 src1_sel:DWORD
	s_and_b64 s[2:3], s[2:3], s[8:9]
	v_cndmask_b32_e64 v32, 0, 1, s[2:3]
.LBB29_88:
	s_or_b64 exec, exec, s[10:11]
	v_add_u32_e32 v1, v3, v1
	v_add3_u32 v1, v1, v2, v5
	v_add3_u32 v1, v1, v4, v7
	;; [unrolled: 1-line block ×10, first 2 shown]
	v_mbcnt_lo_u32_b32 v2, -1, 0
	v_add3_u32 v1, v1, v22, v25
	v_mbcnt_hi_u32_b32 v2, -1, v2
	v_add3_u32 v1, v1, v24, v27
	v_and_b32_e32 v3, 63, v2
	v_add3_u32 v1, v1, v26, v29
	v_cmp_ne_u32_e32 vcc, 63, v3
	v_add3_u32 v1, v1, v28, v31
	v_addc_co_u32_e32 v4, vcc, 0, v2, vcc
	v_add3_u32 v1, v1, v30, v32
	v_lshlrev_b32_e32 v4, 2, v4
	ds_bpermute_b32 v4, v4, v1
	s_min_u32 s8, s12, 0x80
	v_and_b32_e32 v5, 64, v0
	v_sub_u32_e64 v5, s8, v5 clamp
	v_add_u32_e32 v6, 1, v3
	v_cmp_lt_u32_e32 vcc, v6, v5
	s_waitcnt lgkmcnt(0)
	v_cndmask_b32_e32 v4, 0, v4, vcc
	v_cmp_gt_u32_e32 vcc, 62, v3
	v_add_u32_e32 v1, v4, v1
	v_cndmask_b32_e64 v4, 0, 1, vcc
	v_lshlrev_b32_e32 v4, 1, v4
	v_add_lshl_u32 v4, v4, v2, 2
	ds_bpermute_b32 v4, v4, v1
	v_add_u32_e32 v6, 2, v3
	v_cmp_lt_u32_e32 vcc, v6, v5
	v_add_u32_e32 v6, 4, v3
	s_waitcnt lgkmcnt(0)
	v_cndmask_b32_e32 v4, 0, v4, vcc
	v_cmp_gt_u32_e32 vcc, 60, v3
	v_add_u32_e32 v1, v1, v4
	v_cndmask_b32_e64 v4, 0, 1, vcc
	v_lshlrev_b32_e32 v4, 2, v4
	v_add_lshl_u32 v4, v4, v2, 2
	ds_bpermute_b32 v4, v4, v1
	v_cmp_lt_u32_e32 vcc, v6, v5
	v_add_u32_e32 v6, 8, v3
	s_waitcnt lgkmcnt(0)
	v_cndmask_b32_e32 v4, 0, v4, vcc
	v_cmp_gt_u32_e32 vcc, 56, v3
	v_add_u32_e32 v1, v1, v4
	v_cndmask_b32_e64 v4, 0, 1, vcc
	v_lshlrev_b32_e32 v4, 3, v4
	v_add_lshl_u32 v4, v4, v2, 2
	ds_bpermute_b32 v4, v4, v1
	;; [unrolled: 10-line block ×3, first 2 shown]
	v_cmp_lt_u32_e32 vcc, v6, v5
	s_waitcnt lgkmcnt(0)
	v_cndmask_b32_e32 v4, 0, v4, vcc
	v_cmp_gt_u32_e32 vcc, 32, v3
	v_add_u32_e32 v1, v1, v4
	v_cndmask_b32_e64 v4, 0, 1, vcc
	v_lshlrev_b32_e32 v4, 5, v4
	v_add_lshl_u32 v4, v4, v2, 2
	ds_bpermute_b32 v4, v4, v1
	v_add_u32_e32 v3, 32, v3
	v_cmp_lt_u32_e32 vcc, v3, v5
	s_waitcnt lgkmcnt(0)
	v_cndmask_b32_e32 v3, 0, v4, vcc
	v_add_u32_e32 v1, v1, v3
	v_cmp_eq_u32_e32 vcc, 0, v2
	s_and_saveexec_b64 s[2:3], vcc
	s_cbranch_execz .LBB29_90
; %bb.89:
	v_lshrrev_b32_e32 v3, 4, v0
	v_and_b32_e32 v3, 4, v3
	ds_write_b32 v3, v1 offset:48
.LBB29_90:
	s_or_b64 exec, exec, s[2:3]
	v_cmp_gt_u32_e32 vcc, 2, v0
	s_waitcnt lgkmcnt(0)
	s_barrier
	s_and_saveexec_b64 s[2:3], vcc
	s_cbranch_execz .LBB29_92
; %bb.91:
	v_lshlrev_b32_e32 v1, 2, v2
	ds_read_b32 v3, v1 offset:48
	v_or_b32_e32 v1, 4, v1
	s_add_i32 s8, s8, 63
	v_and_b32_e32 v2, 1, v2
	s_lshr_b32 s8, s8, 6
	s_waitcnt lgkmcnt(0)
	ds_bpermute_b32 v1, v1, v3
	v_add_u32_e32 v2, 1, v2
	v_cmp_gt_u32_e32 vcc, s8, v2
	s_waitcnt lgkmcnt(0)
	v_cndmask_b32_e32 v1, 0, v1, vcc
	v_add_u32_e32 v1, v1, v3
.LBB29_92:
	s_or_b64 exec, exec, s[2:3]
	v_cmp_eq_u32_e64 s[2:3], 0, v0
	s_and_b64 vcc, exec, s[0:1]
	s_cbranch_vccnz .LBB29_15
.LBB29_93:
	s_branch .LBB29_142
.LBB29_94:
	s_mov_b64 s[0:1], -1
                                        ; implicit-def: $vgpr1
.LBB29_95:
	s_and_b64 vcc, exec, s[0:1]
	s_cbranch_vccz .LBB29_133
; %bb.96:
	s_sub_i32 s48, s36, s2
	v_cmp_gt_u32_e32 vcc, s48, v0
                                        ; implicit-def: $vgpr2_vgpr3_vgpr4_vgpr5_vgpr6_vgpr7_vgpr8_vgpr9_vgpr10_vgpr11_vgpr12_vgpr13_vgpr14_vgpr15_vgpr16_vgpr17
	s_and_saveexec_b64 s[0:1], vcc
	s_cbranch_execz .LBB29_98
; %bb.97:
	global_load_ubyte v1, v0, s[44:45]
	global_load_ubyte v2, v0, s[34:35]
	v_mov_b32_e32 v3, 58
	s_movk_i32 s8, 0xc6
	s_waitcnt vmcnt(1)
	v_add_u16_e32 v1, 0xffbf, v1
	s_waitcnt vmcnt(0)
	v_add_u16_e32 v2, 0xff85, v2
	v_cmp_lt_u16_sdwa s[2:3], v1, v3 src0_sel:BYTE_0 src1_sel:DWORD
	v_cmp_lt_u16_sdwa s[8:9], v2, s8 src0_sel:BYTE_0 src1_sel:DWORD
	s_and_b64 s[2:3], s[2:3], s[8:9]
	v_cndmask_b32_e64 v2, 0, 1, s[2:3]
.LBB29_98:
	s_or_b64 exec, exec, s[0:1]
	v_or_b32_e32 v1, 0x80, v0
	v_cmp_gt_u32_e32 vcc, s48, v1
	s_and_saveexec_b64 s[0:1], vcc
	s_cbranch_execz .LBB29_100
; %bb.99:
	global_load_ubyte v1, v0, s[44:45] offset:128
	global_load_ubyte v3, v0, s[34:35] offset:128
	v_mov_b32_e32 v18, 58
	s_movk_i32 s8, 0xc6
	s_waitcnt vmcnt(1)
	v_add_u16_e32 v1, 0xffbf, v1
	s_waitcnt vmcnt(0)
	v_add_u16_e32 v3, 0xff85, v3
	v_cmp_lt_u16_sdwa s[2:3], v1, v18 src0_sel:BYTE_0 src1_sel:DWORD
	v_cmp_lt_u16_sdwa s[8:9], v3, s8 src0_sel:BYTE_0 src1_sel:DWORD
	s_and_b64 s[2:3], s[2:3], s[8:9]
	v_cndmask_b32_e64 v3, 0, 1, s[2:3]
.LBB29_100:
	s_or_b64 exec, exec, s[0:1]
	v_or_b32_e32 v1, 0x100, v0
	v_cmp_gt_u32_e64 s[0:1], s48, v1
	s_and_saveexec_b64 s[2:3], s[0:1]
	s_cbranch_execz .LBB29_102
; %bb.101:
	global_load_ubyte v1, v0, s[44:45] offset:256
	global_load_ubyte v4, v0, s[34:35] offset:256
	v_mov_b32_e32 v18, 58
	s_movk_i32 s10, 0xc6
	s_waitcnt vmcnt(1)
	v_add_u16_e32 v1, 0xffbf, v1
	s_waitcnt vmcnt(0)
	v_add_u16_e32 v4, 0xff85, v4
	v_cmp_lt_u16_sdwa s[8:9], v1, v18 src0_sel:BYTE_0 src1_sel:DWORD
	v_cmp_lt_u16_sdwa s[10:11], v4, s10 src0_sel:BYTE_0 src1_sel:DWORD
	s_and_b64 s[8:9], s[8:9], s[10:11]
	v_cndmask_b32_e64 v4, 0, 1, s[8:9]
.LBB29_102:
	s_or_b64 exec, exec, s[2:3]
	v_or_b32_e32 v1, 0x180, v0
	v_cmp_gt_u32_e64 s[2:3], s48, v1
	s_and_saveexec_b64 s[8:9], s[2:3]
	;; [unrolled: 19-line block ×14, first 2 shown]
	s_cbranch_execz .LBB29_128
; %bb.127:
	global_load_ubyte v1, v0, s[44:45] offset:1920
	global_load_ubyte v17, v0, s[34:35] offset:1920
	v_mov_b32_e32 v18, 58
	s_movk_i32 s44, 0xc6
	s_waitcnt vmcnt(1)
	v_add_u16_e32 v1, 0xffbf, v1
	s_waitcnt vmcnt(0)
	v_add_u16_e32 v17, 0xff85, v17
	v_cmp_lt_u16_sdwa s[34:35], v1, v18 src0_sel:BYTE_0 src1_sel:DWORD
	v_cmp_lt_u16_sdwa s[44:45], v17, s44 src0_sel:BYTE_0 src1_sel:DWORD
	s_and_b64 s[34:35], s[34:35], s[44:45]
	v_cndmask_b32_e64 v17, 0, 1, s[34:35]
.LBB29_128:
	s_or_b64 exec, exec, s[46:47]
	v_cndmask_b32_e32 v1, 0, v3, vcc
	v_add_u32_e32 v1, v1, v2
	v_cndmask_b32_e64 v2, 0, v4, s[0:1]
	v_cndmask_b32_e64 v3, 0, v5, s[2:3]
	v_add3_u32 v1, v1, v2, v3
	v_cndmask_b32_e64 v2, 0, v6, s[8:9]
	v_cndmask_b32_e64 v3, 0, v7, s[10:11]
	v_add3_u32 v1, v1, v2, v3
	;; [unrolled: 3-line block ×7, first 2 shown]
	v_mbcnt_lo_u32_b32 v2, -1, 0
	v_mbcnt_hi_u32_b32 v2, -1, v2
	v_and_b32_e32 v3, 63, v2
	v_cmp_ne_u32_e32 vcc, 63, v3
	v_addc_co_u32_e32 v4, vcc, 0, v2, vcc
	v_lshlrev_b32_e32 v4, 2, v4
	ds_bpermute_b32 v4, v4, v1
	s_min_u32 s2, s48, 0x80
	v_and_b32_e32 v5, 64, v0
	v_sub_u32_e64 v5, s2, v5 clamp
	v_add_u32_e32 v6, 1, v3
	v_cmp_lt_u32_e32 vcc, v6, v5
	s_waitcnt lgkmcnt(0)
	v_cndmask_b32_e32 v4, 0, v4, vcc
	v_cmp_gt_u32_e32 vcc, 62, v3
	v_add_u32_e32 v1, v1, v4
	v_cndmask_b32_e64 v4, 0, 1, vcc
	v_lshlrev_b32_e32 v4, 1, v4
	v_add_lshl_u32 v4, v4, v2, 2
	ds_bpermute_b32 v4, v4, v1
	v_add_u32_e32 v6, 2, v3
	v_cmp_lt_u32_e32 vcc, v6, v5
	v_add_u32_e32 v6, 4, v3
	s_waitcnt lgkmcnt(0)
	v_cndmask_b32_e32 v4, 0, v4, vcc
	v_cmp_gt_u32_e32 vcc, 60, v3
	v_add_u32_e32 v1, v1, v4
	v_cndmask_b32_e64 v4, 0, 1, vcc
	v_lshlrev_b32_e32 v4, 2, v4
	v_add_lshl_u32 v4, v4, v2, 2
	ds_bpermute_b32 v4, v4, v1
	v_cmp_lt_u32_e32 vcc, v6, v5
	v_add_u32_e32 v6, 8, v3
	s_waitcnt lgkmcnt(0)
	v_cndmask_b32_e32 v4, 0, v4, vcc
	v_cmp_gt_u32_e32 vcc, 56, v3
	v_add_u32_e32 v1, v1, v4
	v_cndmask_b32_e64 v4, 0, 1, vcc
	v_lshlrev_b32_e32 v4, 3, v4
	v_add_lshl_u32 v4, v4, v2, 2
	ds_bpermute_b32 v4, v4, v1
	;; [unrolled: 10-line block ×3, first 2 shown]
	v_cmp_lt_u32_e32 vcc, v6, v5
	s_waitcnt lgkmcnt(0)
	v_cndmask_b32_e32 v4, 0, v4, vcc
	v_cmp_gt_u32_e32 vcc, 32, v3
	v_add_u32_e32 v1, v1, v4
	v_cndmask_b32_e64 v4, 0, 1, vcc
	v_lshlrev_b32_e32 v4, 5, v4
	v_add_lshl_u32 v4, v4, v2, 2
	ds_bpermute_b32 v4, v4, v1
	v_add_u32_e32 v3, 32, v3
	v_cmp_lt_u32_e32 vcc, v3, v5
	s_waitcnt lgkmcnt(0)
	v_cndmask_b32_e32 v3, 0, v4, vcc
	v_add_u32_e32 v1, v1, v3
	v_cmp_eq_u32_e32 vcc, 0, v2
	s_and_saveexec_b64 s[0:1], vcc
	s_cbranch_execz .LBB29_130
; %bb.129:
	v_lshrrev_b32_e32 v3, 4, v0
	v_and_b32_e32 v3, 4, v3
	ds_write_b32 v3, v1 offset:48
.LBB29_130:
	s_or_b64 exec, exec, s[0:1]
	v_cmp_gt_u32_e32 vcc, 2, v0
	s_waitcnt lgkmcnt(0)
	s_barrier
	s_and_saveexec_b64 s[0:1], vcc
	s_cbranch_execz .LBB29_132
; %bb.131:
	v_lshlrev_b32_e32 v1, 2, v2
	ds_read_b32 v3, v1 offset:48
	v_or_b32_e32 v1, 4, v1
	s_add_i32 s2, s2, 63
	v_and_b32_e32 v2, 1, v2
	s_lshr_b32 s2, s2, 6
	s_waitcnt lgkmcnt(0)
	ds_bpermute_b32 v1, v1, v3
	v_add_u32_e32 v2, 1, v2
	v_cmp_gt_u32_e32 vcc, s2, v2
	s_waitcnt lgkmcnt(0)
	v_cndmask_b32_e32 v1, 0, v1, vcc
	v_add_u32_e32 v1, v1, v3
.LBB29_132:
	s_or_b64 exec, exec, s[0:1]
.LBB29_133:
	v_cmp_eq_u32_e64 s[2:3], 0, v0
	s_branch .LBB29_142
.LBB29_134:
	s_cmp_eq_u32 s33, 8
	s_cbranch_scc0 .LBB29_141
; %bb.135:
	s_lshl_b32 s2, s6, 10
	s_lshr_b64 s[0:1], s[36:37], 10
	s_add_u32 s16, s40, s2
	s_addc_u32 s17, s41, 0
	s_add_u32 s18, s42, s2
	s_mov_b32 s7, 0
	s_addc_u32 s19, s43, 0
	s_cmp_lg_u64 s[0:1], s[6:7]
	s_cbranch_scc0 .LBB29_143
; %bb.136:
	global_load_ubyte v1, v0, s[18:19]
	global_load_ubyte v4, v0, s[16:17]
	global_load_ubyte v5, v0, s[18:19] offset:128
	global_load_ubyte v6, v0, s[16:17] offset:128
	;; [unrolled: 1-line block ×14, first 2 shown]
	v_mov_b32_e32 v19, 58
	s_movk_i32 s3, 0xc6
	v_mbcnt_lo_u32_b32 v2, -1, 0
	v_mbcnt_hi_u32_b32 v2, -1, v2
	v_lshlrev_b32_e32 v3, 2, v2
	s_waitcnt vmcnt(15)
	v_add_u16_e32 v1, 0xffbf, v1
	s_waitcnt vmcnt(14)
	v_add_u16_e32 v4, 0xff85, v4
	s_waitcnt vmcnt(13)
	v_add_u16_e32 v5, 0xffbf, v5
	s_waitcnt vmcnt(12)
	v_add_u16_e32 v6, 0xff85, v6
	v_cmp_lt_u16_sdwa s[0:1], v1, v19 src0_sel:BYTE_0 src1_sel:DWORD
	v_cmp_lt_u16_sdwa s[8:9], v4, s3 src0_sel:BYTE_0 src1_sel:DWORD
	s_waitcnt vmcnt(11)
	v_add_u16_e32 v7, 0xffbf, v7
	s_waitcnt vmcnt(10)
	v_add_u16_e32 v8, 0xff85, v8
	v_cmp_lt_u16_sdwa s[10:11], v5, v19 src0_sel:BYTE_0 src1_sel:DWORD
	v_cmp_lt_u16_sdwa s[12:13], v6, s3 src0_sel:BYTE_0 src1_sel:DWORD
	s_and_b64 s[0:1], s[0:1], s[8:9]
	s_waitcnt vmcnt(9)
	v_add_u16_e32 v9, 0xffbf, v9
	s_waitcnt vmcnt(8)
	v_add_u16_e32 v10, 0xff85, v10
	v_cmp_lt_u16_sdwa s[14:15], v7, v19 src0_sel:BYTE_0 src1_sel:DWORD
	v_cmp_lt_u16_sdwa s[20:21], v8, s3 src0_sel:BYTE_0 src1_sel:DWORD
	v_cndmask_b32_e64 v1, 0, 1, s[0:1]
	s_and_b64 vcc, s[10:11], s[12:13]
	s_waitcnt vmcnt(7)
	v_add_u16_e32 v11, 0xffbf, v11
	s_waitcnt vmcnt(6)
	v_add_u16_e32 v12, 0xff85, v12
	v_cmp_lt_u16_sdwa s[22:23], v9, v19 src0_sel:BYTE_0 src1_sel:DWORD
	v_cmp_lt_u16_sdwa s[24:25], v10, s3 src0_sel:BYTE_0 src1_sel:DWORD
	s_and_b64 s[0:1], s[14:15], s[20:21]
	v_addc_co_u32_e32 v1, vcc, 0, v1, vcc
	s_waitcnt vmcnt(5)
	v_add_u16_e32 v13, 0xffbf, v13
	s_waitcnt vmcnt(4)
	v_add_u16_e32 v14, 0xff85, v14
	v_cmp_lt_u16_sdwa s[26:27], v11, v19 src0_sel:BYTE_0 src1_sel:DWORD
	v_cmp_lt_u16_sdwa s[28:29], v12, s3 src0_sel:BYTE_0 src1_sel:DWORD
	v_cndmask_b32_e64 v4, 0, 1, s[0:1]
	s_and_b64 vcc, s[22:23], s[24:25]
	s_waitcnt vmcnt(3)
	v_add_u16_e32 v15, 0xffbf, v15
	s_waitcnt vmcnt(2)
	v_add_u16_e32 v16, 0xff85, v16
	v_cmp_lt_u16_sdwa s[30:31], v13, v19 src0_sel:BYTE_0 src1_sel:DWORD
	v_cmp_lt_u16_sdwa s[34:35], v14, s3 src0_sel:BYTE_0 src1_sel:DWORD
	s_and_b64 s[0:1], s[26:27], s[28:29]
	v_addc_co_u32_e32 v1, vcc, v1, v4, vcc
	s_waitcnt vmcnt(1)
	v_add_u16_e32 v17, 0xffbf, v17
	s_waitcnt vmcnt(0)
	v_add_u16_e32 v18, 0xff85, v18
	v_cmp_lt_u16_sdwa s[44:45], v15, v19 src0_sel:BYTE_0 src1_sel:DWORD
	v_cmp_lt_u16_sdwa s[46:47], v16, s3 src0_sel:BYTE_0 src1_sel:DWORD
	v_cndmask_b32_e64 v5, 0, 1, s[0:1]
	s_and_b64 vcc, s[30:31], s[34:35]
	v_cmp_lt_u16_sdwa s[48:49], v17, v19 src0_sel:BYTE_0 src1_sel:DWORD
	v_cmp_lt_u16_sdwa s[50:51], v18, s3 src0_sel:BYTE_0 src1_sel:DWORD
	s_and_b64 s[0:1], s[44:45], s[46:47]
	v_addc_co_u32_e32 v1, vcc, v1, v5, vcc
	v_cndmask_b32_e64 v6, 0, 1, s[0:1]
	s_and_b64 vcc, s[48:49], s[50:51]
	v_addc_co_u32_e32 v1, vcc, v1, v6, vcc
	v_or_b32_e32 v4, 0xfc, v3
	s_nop 0
	v_add_u32_dpp v1, v1, v1 quad_perm:[1,0,3,2] row_mask:0xf bank_mask:0xf bound_ctrl:1
	v_cmp_eq_u32_e32 vcc, 0, v2
	s_nop 0
	v_add_u32_dpp v1, v1, v1 quad_perm:[2,3,0,1] row_mask:0xf bank_mask:0xf bound_ctrl:1
	s_nop 1
	v_add_u32_dpp v1, v1, v1 row_ror:4 row_mask:0xf bank_mask:0xf bound_ctrl:1
	s_nop 1
	v_add_u32_dpp v1, v1, v1 row_ror:8 row_mask:0xf bank_mask:0xf bound_ctrl:1
	s_nop 1
	v_add_u32_dpp v1, v1, v1 row_bcast:15 row_mask:0xf bank_mask:0xf bound_ctrl:1
	s_nop 1
	v_add_u32_dpp v1, v1, v1 row_bcast:31 row_mask:0xf bank_mask:0xf bound_ctrl:1
	ds_bpermute_b32 v1, v4, v1
	s_and_saveexec_b64 s[0:1], vcc
	s_cbranch_execz .LBB29_138
; %bb.137:
	v_lshrrev_b32_e32 v4, 4, v0
	v_and_b32_e32 v4, 4, v4
	s_waitcnt lgkmcnt(0)
	ds_write_b32 v4, v1 offset:40
.LBB29_138:
	s_or_b64 exec, exec, s[0:1]
	v_cmp_gt_u32_e32 vcc, 64, v0
	s_waitcnt lgkmcnt(0)
	s_barrier
	s_and_saveexec_b64 s[0:1], vcc
	s_cbranch_execz .LBB29_140
; %bb.139:
	v_and_b32_e32 v1, 1, v2
	v_lshlrev_b32_e32 v1, 2, v1
	ds_read_b32 v1, v1 offset:40
	v_or_b32_e32 v2, 4, v3
	s_waitcnt lgkmcnt(0)
	ds_bpermute_b32 v2, v2, v1
	s_waitcnt lgkmcnt(0)
	v_add_u32_e32 v1, v2, v1
.LBB29_140:
	s_or_b64 exec, exec, s[0:1]
	s_branch .LBB29_165
.LBB29_141:
                                        ; implicit-def: $vgpr1
.LBB29_142:
	s_branch .LBB29_224
.LBB29_143:
                                        ; implicit-def: $vgpr1
	s_cbranch_execz .LBB29_165
; %bb.144:
	s_sub_i32 s22, s36, s2
	v_cmp_gt_u32_e32 vcc, s22, v0
                                        ; implicit-def: $vgpr2_vgpr3_vgpr4_vgpr5_vgpr6_vgpr7_vgpr8_vgpr9
	s_and_saveexec_b64 s[0:1], vcc
	s_cbranch_execz .LBB29_146
; %bb.145:
	global_load_ubyte v1, v0, s[18:19]
	global_load_ubyte v2, v0, s[16:17]
	v_mov_b32_e32 v3, 58
	s_movk_i32 s8, 0xc6
	s_waitcnt vmcnt(1)
	v_add_u16_e32 v1, 0xffbf, v1
	s_waitcnt vmcnt(0)
	v_add_u16_e32 v2, 0xff85, v2
	v_cmp_lt_u16_sdwa s[2:3], v1, v3 src0_sel:BYTE_0 src1_sel:DWORD
	v_cmp_lt_u16_sdwa s[8:9], v2, s8 src0_sel:BYTE_0 src1_sel:DWORD
	s_and_b64 s[2:3], s[2:3], s[8:9]
	v_cndmask_b32_e64 v2, 0, 1, s[2:3]
.LBB29_146:
	s_or_b64 exec, exec, s[0:1]
	v_or_b32_e32 v1, 0x80, v0
	v_cmp_gt_u32_e32 vcc, s22, v1
	s_and_saveexec_b64 s[0:1], vcc
	s_cbranch_execz .LBB29_148
; %bb.147:
	global_load_ubyte v1, v0, s[18:19] offset:128
	global_load_ubyte v3, v0, s[16:17] offset:128
	v_mov_b32_e32 v10, 58
	s_movk_i32 s8, 0xc6
	s_waitcnt vmcnt(1)
	v_add_u16_e32 v1, 0xffbf, v1
	s_waitcnt vmcnt(0)
	v_add_u16_e32 v3, 0xff85, v3
	v_cmp_lt_u16_sdwa s[2:3], v1, v10 src0_sel:BYTE_0 src1_sel:DWORD
	v_cmp_lt_u16_sdwa s[8:9], v3, s8 src0_sel:BYTE_0 src1_sel:DWORD
	s_and_b64 s[2:3], s[2:3], s[8:9]
	v_cndmask_b32_e64 v3, 0, 1, s[2:3]
.LBB29_148:
	s_or_b64 exec, exec, s[0:1]
	v_or_b32_e32 v1, 0x100, v0
	v_cmp_gt_u32_e64 s[0:1], s22, v1
	s_and_saveexec_b64 s[2:3], s[0:1]
	s_cbranch_execz .LBB29_150
; %bb.149:
	global_load_ubyte v1, v0, s[18:19] offset:256
	global_load_ubyte v4, v0, s[16:17] offset:256
	v_mov_b32_e32 v10, 58
	s_movk_i32 s10, 0xc6
	s_waitcnt vmcnt(1)
	v_add_u16_e32 v1, 0xffbf, v1
	s_waitcnt vmcnt(0)
	v_add_u16_e32 v4, 0xff85, v4
	v_cmp_lt_u16_sdwa s[8:9], v1, v10 src0_sel:BYTE_0 src1_sel:DWORD
	v_cmp_lt_u16_sdwa s[10:11], v4, s10 src0_sel:BYTE_0 src1_sel:DWORD
	s_and_b64 s[8:9], s[8:9], s[10:11]
	v_cndmask_b32_e64 v4, 0, 1, s[8:9]
.LBB29_150:
	s_or_b64 exec, exec, s[2:3]
	v_or_b32_e32 v1, 0x180, v0
	v_cmp_gt_u32_e64 s[2:3], s22, v1
	s_and_saveexec_b64 s[8:9], s[2:3]
	;; [unrolled: 19-line block ×6, first 2 shown]
	s_cbranch_execz .LBB29_160
; %bb.159:
	global_load_ubyte v1, v0, s[18:19] offset:896
	global_load_ubyte v9, v0, s[16:17] offset:896
	v_mov_b32_e32 v10, 58
	s_movk_i32 s18, 0xc6
	s_waitcnt vmcnt(1)
	v_add_u16_e32 v1, 0xffbf, v1
	s_waitcnt vmcnt(0)
	v_add_u16_e32 v9, 0xff85, v9
	v_cmp_lt_u16_sdwa s[16:17], v1, v10 src0_sel:BYTE_0 src1_sel:DWORD
	v_cmp_lt_u16_sdwa s[18:19], v9, s18 src0_sel:BYTE_0 src1_sel:DWORD
	s_and_b64 s[16:17], s[16:17], s[18:19]
	v_cndmask_b32_e64 v9, 0, 1, s[16:17]
.LBB29_160:
	s_or_b64 exec, exec, s[20:21]
	v_cndmask_b32_e32 v1, 0, v3, vcc
	v_add_u32_e32 v1, v1, v2
	v_cndmask_b32_e64 v2, 0, v4, s[0:1]
	v_cndmask_b32_e64 v3, 0, v5, s[2:3]
	v_add3_u32 v1, v1, v2, v3
	v_cndmask_b32_e64 v2, 0, v6, s[8:9]
	v_cndmask_b32_e64 v3, 0, v7, s[10:11]
	v_add3_u32 v1, v1, v2, v3
	;; [unrolled: 3-line block ×3, first 2 shown]
	v_mbcnt_lo_u32_b32 v2, -1, 0
	v_mbcnt_hi_u32_b32 v2, -1, v2
	v_and_b32_e32 v3, 63, v2
	v_cmp_ne_u32_e32 vcc, 63, v3
	v_addc_co_u32_e32 v4, vcc, 0, v2, vcc
	v_lshlrev_b32_e32 v4, 2, v4
	ds_bpermute_b32 v4, v4, v1
	s_min_u32 s2, s22, 0x80
	v_and_b32_e32 v5, 64, v0
	v_sub_u32_e64 v5, s2, v5 clamp
	v_add_u32_e32 v6, 1, v3
	v_cmp_lt_u32_e32 vcc, v6, v5
	s_waitcnt lgkmcnt(0)
	v_cndmask_b32_e32 v4, 0, v4, vcc
	v_cmp_gt_u32_e32 vcc, 62, v3
	v_add_u32_e32 v1, v1, v4
	v_cndmask_b32_e64 v4, 0, 1, vcc
	v_lshlrev_b32_e32 v4, 1, v4
	v_add_lshl_u32 v4, v4, v2, 2
	ds_bpermute_b32 v4, v4, v1
	v_add_u32_e32 v6, 2, v3
	v_cmp_lt_u32_e32 vcc, v6, v5
	v_add_u32_e32 v6, 4, v3
	s_waitcnt lgkmcnt(0)
	v_cndmask_b32_e32 v4, 0, v4, vcc
	v_cmp_gt_u32_e32 vcc, 60, v3
	v_add_u32_e32 v1, v1, v4
	v_cndmask_b32_e64 v4, 0, 1, vcc
	v_lshlrev_b32_e32 v4, 2, v4
	v_add_lshl_u32 v4, v4, v2, 2
	ds_bpermute_b32 v4, v4, v1
	v_cmp_lt_u32_e32 vcc, v6, v5
	v_add_u32_e32 v6, 8, v3
	s_waitcnt lgkmcnt(0)
	v_cndmask_b32_e32 v4, 0, v4, vcc
	v_cmp_gt_u32_e32 vcc, 56, v3
	v_add_u32_e32 v1, v1, v4
	v_cndmask_b32_e64 v4, 0, 1, vcc
	v_lshlrev_b32_e32 v4, 3, v4
	v_add_lshl_u32 v4, v4, v2, 2
	ds_bpermute_b32 v4, v4, v1
	;; [unrolled: 10-line block ×3, first 2 shown]
	v_cmp_lt_u32_e32 vcc, v6, v5
	s_waitcnt lgkmcnt(0)
	v_cndmask_b32_e32 v4, 0, v4, vcc
	v_cmp_gt_u32_e32 vcc, 32, v3
	v_add_u32_e32 v1, v1, v4
	v_cndmask_b32_e64 v4, 0, 1, vcc
	v_lshlrev_b32_e32 v4, 5, v4
	v_add_lshl_u32 v4, v4, v2, 2
	ds_bpermute_b32 v4, v4, v1
	v_add_u32_e32 v3, 32, v3
	v_cmp_lt_u32_e32 vcc, v3, v5
	s_waitcnt lgkmcnt(0)
	v_cndmask_b32_e32 v3, 0, v4, vcc
	v_add_u32_e32 v1, v1, v3
	v_cmp_eq_u32_e32 vcc, 0, v2
	s_and_saveexec_b64 s[0:1], vcc
	s_cbranch_execz .LBB29_162
; %bb.161:
	v_lshrrev_b32_e32 v3, 4, v0
	v_and_b32_e32 v3, 4, v3
	ds_write_b32 v3, v1 offset:48
.LBB29_162:
	s_or_b64 exec, exec, s[0:1]
	v_cmp_gt_u32_e32 vcc, 2, v0
	s_waitcnt lgkmcnt(0)
	s_barrier
	s_and_saveexec_b64 s[0:1], vcc
	s_cbranch_execz .LBB29_164
; %bb.163:
	v_lshlrev_b32_e32 v1, 2, v2
	ds_read_b32 v3, v1 offset:48
	v_or_b32_e32 v1, 4, v1
	s_add_i32 s2, s2, 63
	v_and_b32_e32 v2, 1, v2
	s_lshr_b32 s2, s2, 6
	s_waitcnt lgkmcnt(0)
	ds_bpermute_b32 v1, v1, v3
	v_add_u32_e32 v2, 1, v2
	v_cmp_gt_u32_e32 vcc, s2, v2
	s_waitcnt lgkmcnt(0)
	v_cndmask_b32_e32 v1, 0, v1, vcc
	v_add_u32_e32 v1, v1, v3
.LBB29_164:
	s_or_b64 exec, exec, s[0:1]
.LBB29_165:
	v_cmp_eq_u32_e64 s[2:3], 0, v0
	s_branch .LBB29_224
.LBB29_166:
	s_cmp_gt_i32 s33, 1
	s_cbranch_scc0 .LBB29_175
; %bb.167:
	s_cmp_gt_i32 s33, 3
	s_cbranch_scc0 .LBB29_176
; %bb.168:
	s_cmp_eq_u32 s33, 4
	s_cbranch_scc0 .LBB29_177
; %bb.169:
	s_lshl_b32 s2, s6, 9
	s_lshr_b64 s[0:1], s[36:37], 9
	s_add_u32 s8, s40, s2
	s_addc_u32 s9, s41, 0
	s_add_u32 s10, s42, s2
	s_mov_b32 s7, 0
	s_addc_u32 s11, s43, 0
	s_cmp_lg_u64 s[0:1], s[6:7]
	s_cbranch_scc0 .LBB29_179
; %bb.170:
	global_load_ubyte v1, v0, s[10:11]
	global_load_ubyte v4, v0, s[8:9]
	global_load_ubyte v5, v0, s[10:11] offset:128
	global_load_ubyte v6, v0, s[8:9] offset:128
	;; [unrolled: 1-line block ×6, first 2 shown]
	v_mov_b32_e32 v11, 58
	s_movk_i32 s3, 0xc6
	v_mbcnt_lo_u32_b32 v2, -1, 0
	v_mbcnt_hi_u32_b32 v2, -1, v2
	v_lshlrev_b32_e32 v3, 2, v2
	s_waitcnt vmcnt(7)
	v_add_u16_e32 v1, 0xffbf, v1
	s_waitcnt vmcnt(6)
	v_add_u16_e32 v4, 0xff85, v4
	;; [unrolled: 2-line block ×4, first 2 shown]
	v_cmp_lt_u16_sdwa s[0:1], v1, v11 src0_sel:BYTE_0 src1_sel:DWORD
	v_cmp_lt_u16_sdwa s[12:13], v4, s3 src0_sel:BYTE_0 src1_sel:DWORD
	s_waitcnt vmcnt(3)
	v_add_u16_e32 v7, 0xffbf, v7
	s_waitcnt vmcnt(2)
	v_add_u16_e32 v8, 0xff85, v8
	v_cmp_lt_u16_sdwa s[14:15], v5, v11 src0_sel:BYTE_0 src1_sel:DWORD
	v_cmp_lt_u16_sdwa s[16:17], v6, s3 src0_sel:BYTE_0 src1_sel:DWORD
	s_and_b64 s[0:1], s[0:1], s[12:13]
	s_waitcnt vmcnt(1)
	v_add_u16_e32 v9, 0xffbf, v9
	s_waitcnt vmcnt(0)
	v_add_u16_e32 v10, 0xff85, v10
	v_cmp_lt_u16_sdwa s[18:19], v7, v11 src0_sel:BYTE_0 src1_sel:DWORD
	v_cmp_lt_u16_sdwa s[20:21], v8, s3 src0_sel:BYTE_0 src1_sel:DWORD
	v_cndmask_b32_e64 v1, 0, 1, s[0:1]
	s_and_b64 vcc, s[14:15], s[16:17]
	v_cmp_lt_u16_sdwa s[22:23], v9, v11 src0_sel:BYTE_0 src1_sel:DWORD
	v_cmp_lt_u16_sdwa s[24:25], v10, s3 src0_sel:BYTE_0 src1_sel:DWORD
	s_and_b64 s[0:1], s[18:19], s[20:21]
	v_addc_co_u32_e32 v1, vcc, 0, v1, vcc
	v_cndmask_b32_e64 v4, 0, 1, s[0:1]
	s_and_b64 vcc, s[22:23], s[24:25]
	v_addc_co_u32_e32 v1, vcc, v1, v4, vcc
	v_or_b32_e32 v4, 0xfc, v3
	s_nop 0
	v_add_u32_dpp v1, v1, v1 quad_perm:[1,0,3,2] row_mask:0xf bank_mask:0xf bound_ctrl:1
	v_cmp_eq_u32_e32 vcc, 0, v2
	s_nop 0
	v_add_u32_dpp v1, v1, v1 quad_perm:[2,3,0,1] row_mask:0xf bank_mask:0xf bound_ctrl:1
	s_nop 1
	v_add_u32_dpp v1, v1, v1 row_ror:4 row_mask:0xf bank_mask:0xf bound_ctrl:1
	s_nop 1
	v_add_u32_dpp v1, v1, v1 row_ror:8 row_mask:0xf bank_mask:0xf bound_ctrl:1
	s_nop 1
	v_add_u32_dpp v1, v1, v1 row_bcast:15 row_mask:0xf bank_mask:0xf bound_ctrl:1
	s_nop 1
	v_add_u32_dpp v1, v1, v1 row_bcast:31 row_mask:0xf bank_mask:0xf bound_ctrl:1
	ds_bpermute_b32 v1, v4, v1
	s_and_saveexec_b64 s[0:1], vcc
	s_cbranch_execz .LBB29_172
; %bb.171:
	v_lshrrev_b32_e32 v4, 4, v0
	v_and_b32_e32 v4, 4, v4
	s_waitcnt lgkmcnt(0)
	ds_write_b32 v4, v1 offset:32
.LBB29_172:
	s_or_b64 exec, exec, s[0:1]
	v_cmp_gt_u32_e32 vcc, 64, v0
	s_waitcnt lgkmcnt(0)
	s_barrier
	s_and_saveexec_b64 s[0:1], vcc
	s_cbranch_execz .LBB29_174
; %bb.173:
	v_and_b32_e32 v1, 1, v2
	v_lshlrev_b32_e32 v1, 2, v1
	ds_read_b32 v1, v1 offset:32
	v_or_b32_e32 v2, 4, v3
	s_waitcnt lgkmcnt(0)
	ds_bpermute_b32 v2, v2, v1
	s_waitcnt lgkmcnt(0)
	v_add_u32_e32 v1, v2, v1
.LBB29_174:
	s_or_b64 exec, exec, s[0:1]
	s_mov_b64 s[0:1], 0
	s_branch .LBB29_180
.LBB29_175:
                                        ; implicit-def: $vgpr1
	s_cbranch_execnz .LBB29_215
	s_branch .LBB29_224
.LBB29_176:
                                        ; implicit-def: $vgpr1
	s_cbranch_execz .LBB29_178
	s_branch .LBB29_195
.LBB29_177:
                                        ; implicit-def: $vgpr1
.LBB29_178:
	s_branch .LBB29_224
.LBB29_179:
	s_mov_b64 s[0:1], -1
                                        ; implicit-def: $vgpr1
.LBB29_180:
	s_and_b64 vcc, exec, s[0:1]
	s_cbranch_vccz .LBB29_194
; %bb.181:
	s_sub_i32 s14, s36, s2
	v_cmp_gt_u32_e32 vcc, s14, v0
                                        ; implicit-def: $vgpr2_vgpr3_vgpr4_vgpr5
	s_and_saveexec_b64 s[0:1], vcc
	s_cbranch_execz .LBB29_183
; %bb.182:
	global_load_ubyte v1, v0, s[10:11]
	global_load_ubyte v2, v0, s[8:9]
	v_mov_b32_e32 v3, 58
	s_movk_i32 s12, 0xc6
	s_waitcnt vmcnt(1)
	v_add_u16_e32 v1, 0xffbf, v1
	s_waitcnt vmcnt(0)
	v_add_u16_e32 v2, 0xff85, v2
	v_cmp_lt_u16_sdwa s[2:3], v1, v3 src0_sel:BYTE_0 src1_sel:DWORD
	v_cmp_lt_u16_sdwa s[12:13], v2, s12 src0_sel:BYTE_0 src1_sel:DWORD
	s_and_b64 s[2:3], s[2:3], s[12:13]
	v_cndmask_b32_e64 v2, 0, 1, s[2:3]
.LBB29_183:
	s_or_b64 exec, exec, s[0:1]
	v_or_b32_e32 v1, 0x80, v0
	v_cmp_gt_u32_e32 vcc, s14, v1
	s_and_saveexec_b64 s[0:1], vcc
	s_cbranch_execz .LBB29_185
; %bb.184:
	global_load_ubyte v1, v0, s[10:11] offset:128
	global_load_ubyte v3, v0, s[8:9] offset:128
	v_mov_b32_e32 v6, 58
	s_movk_i32 s12, 0xc6
	s_waitcnt vmcnt(1)
	v_add_u16_e32 v1, 0xffbf, v1
	s_waitcnt vmcnt(0)
	v_add_u16_e32 v3, 0xff85, v3
	v_cmp_lt_u16_sdwa s[2:3], v1, v6 src0_sel:BYTE_0 src1_sel:DWORD
	v_cmp_lt_u16_sdwa s[12:13], v3, s12 src0_sel:BYTE_0 src1_sel:DWORD
	s_and_b64 s[2:3], s[2:3], s[12:13]
	v_cndmask_b32_e64 v3, 0, 1, s[2:3]
.LBB29_185:
	s_or_b64 exec, exec, s[0:1]
	v_or_b32_e32 v1, 0x100, v0
	v_cmp_gt_u32_e64 s[0:1], s14, v1
	s_and_saveexec_b64 s[2:3], s[0:1]
	s_cbranch_execz .LBB29_187
; %bb.186:
	global_load_ubyte v1, v0, s[10:11] offset:256
	global_load_ubyte v4, v0, s[8:9] offset:256
	v_mov_b32_e32 v6, 58
	s_movk_i32 s15, 0xc6
	s_waitcnt vmcnt(1)
	v_add_u16_e32 v1, 0xffbf, v1
	s_waitcnt vmcnt(0)
	v_add_u16_e32 v4, 0xff85, v4
	v_cmp_lt_u16_sdwa s[12:13], v1, v6 src0_sel:BYTE_0 src1_sel:DWORD
	v_cmp_lt_u16_sdwa s[16:17], v4, s15 src0_sel:BYTE_0 src1_sel:DWORD
	s_and_b64 s[12:13], s[12:13], s[16:17]
	v_cndmask_b32_e64 v4, 0, 1, s[12:13]
.LBB29_187:
	s_or_b64 exec, exec, s[2:3]
	v_or_b32_e32 v1, 0x180, v0
	v_cmp_gt_u32_e64 s[2:3], s14, v1
	s_and_saveexec_b64 s[12:13], s[2:3]
	s_cbranch_execz .LBB29_189
; %bb.188:
	global_load_ubyte v1, v0, s[10:11] offset:384
	global_load_ubyte v5, v0, s[8:9] offset:384
	v_mov_b32_e32 v6, 58
	s_movk_i32 s10, 0xc6
	s_waitcnt vmcnt(1)
	v_add_u16_e32 v1, 0xffbf, v1
	s_waitcnt vmcnt(0)
	v_add_u16_e32 v5, 0xff85, v5
	v_cmp_lt_u16_sdwa s[8:9], v1, v6 src0_sel:BYTE_0 src1_sel:DWORD
	v_cmp_lt_u16_sdwa s[10:11], v5, s10 src0_sel:BYTE_0 src1_sel:DWORD
	s_and_b64 s[8:9], s[8:9], s[10:11]
	v_cndmask_b32_e64 v5, 0, 1, s[8:9]
.LBB29_189:
	s_or_b64 exec, exec, s[12:13]
	v_cndmask_b32_e32 v1, 0, v3, vcc
	v_add_u32_e32 v1, v1, v2
	v_cndmask_b32_e64 v2, 0, v4, s[0:1]
	v_cndmask_b32_e64 v3, 0, v5, s[2:3]
	v_add3_u32 v1, v1, v2, v3
	v_mbcnt_lo_u32_b32 v2, -1, 0
	v_mbcnt_hi_u32_b32 v2, -1, v2
	v_and_b32_e32 v3, 63, v2
	v_cmp_ne_u32_e32 vcc, 63, v3
	v_addc_co_u32_e32 v4, vcc, 0, v2, vcc
	v_lshlrev_b32_e32 v4, 2, v4
	ds_bpermute_b32 v4, v4, v1
	s_min_u32 s2, s14, 0x80
	v_and_b32_e32 v5, 64, v0
	v_sub_u32_e64 v5, s2, v5 clamp
	v_add_u32_e32 v6, 1, v3
	v_cmp_lt_u32_e32 vcc, v6, v5
	s_waitcnt lgkmcnt(0)
	v_cndmask_b32_e32 v4, 0, v4, vcc
	v_cmp_gt_u32_e32 vcc, 62, v3
	v_add_u32_e32 v1, v4, v1
	v_cndmask_b32_e64 v4, 0, 1, vcc
	v_lshlrev_b32_e32 v4, 1, v4
	v_add_lshl_u32 v4, v4, v2, 2
	ds_bpermute_b32 v4, v4, v1
	v_add_u32_e32 v6, 2, v3
	v_cmp_lt_u32_e32 vcc, v6, v5
	v_add_u32_e32 v6, 4, v3
	s_waitcnt lgkmcnt(0)
	v_cndmask_b32_e32 v4, 0, v4, vcc
	v_cmp_gt_u32_e32 vcc, 60, v3
	v_add_u32_e32 v1, v1, v4
	v_cndmask_b32_e64 v4, 0, 1, vcc
	v_lshlrev_b32_e32 v4, 2, v4
	v_add_lshl_u32 v4, v4, v2, 2
	ds_bpermute_b32 v4, v4, v1
	v_cmp_lt_u32_e32 vcc, v6, v5
	v_add_u32_e32 v6, 8, v3
	s_waitcnt lgkmcnt(0)
	v_cndmask_b32_e32 v4, 0, v4, vcc
	v_cmp_gt_u32_e32 vcc, 56, v3
	v_add_u32_e32 v1, v1, v4
	v_cndmask_b32_e64 v4, 0, 1, vcc
	v_lshlrev_b32_e32 v4, 3, v4
	v_add_lshl_u32 v4, v4, v2, 2
	ds_bpermute_b32 v4, v4, v1
	;; [unrolled: 10-line block ×3, first 2 shown]
	v_cmp_lt_u32_e32 vcc, v6, v5
	s_waitcnt lgkmcnt(0)
	v_cndmask_b32_e32 v4, 0, v4, vcc
	v_cmp_gt_u32_e32 vcc, 32, v3
	v_add_u32_e32 v1, v1, v4
	v_cndmask_b32_e64 v4, 0, 1, vcc
	v_lshlrev_b32_e32 v4, 5, v4
	v_add_lshl_u32 v4, v4, v2, 2
	ds_bpermute_b32 v4, v4, v1
	v_add_u32_e32 v3, 32, v3
	v_cmp_lt_u32_e32 vcc, v3, v5
	s_waitcnt lgkmcnt(0)
	v_cndmask_b32_e32 v3, 0, v4, vcc
	v_add_u32_e32 v1, v1, v3
	v_cmp_eq_u32_e32 vcc, 0, v2
	s_and_saveexec_b64 s[0:1], vcc
	s_cbranch_execz .LBB29_191
; %bb.190:
	v_lshrrev_b32_e32 v3, 4, v0
	v_and_b32_e32 v3, 4, v3
	ds_write_b32 v3, v1 offset:48
.LBB29_191:
	s_or_b64 exec, exec, s[0:1]
	v_cmp_gt_u32_e32 vcc, 2, v0
	s_waitcnt lgkmcnt(0)
	s_barrier
	s_and_saveexec_b64 s[0:1], vcc
	s_cbranch_execz .LBB29_193
; %bb.192:
	v_lshlrev_b32_e32 v1, 2, v2
	ds_read_b32 v3, v1 offset:48
	v_or_b32_e32 v1, 4, v1
	s_add_i32 s2, s2, 63
	v_and_b32_e32 v2, 1, v2
	s_lshr_b32 s2, s2, 6
	s_waitcnt lgkmcnt(0)
	ds_bpermute_b32 v1, v1, v3
	v_add_u32_e32 v2, 1, v2
	v_cmp_gt_u32_e32 vcc, s2, v2
	s_waitcnt lgkmcnt(0)
	v_cndmask_b32_e32 v1, 0, v1, vcc
	v_add_u32_e32 v1, v1, v3
.LBB29_193:
	s_or_b64 exec, exec, s[0:1]
.LBB29_194:
	v_cmp_eq_u32_e64 s[2:3], 0, v0
	s_branch .LBB29_178
.LBB29_195:
	s_cmp_eq_u32 s33, 2
	s_cbranch_scc0 .LBB29_202
; %bb.196:
	s_lshl_b32 s10, s6, 8
	s_lshr_b64 s[0:1], s[36:37], 8
	s_add_u32 s2, s40, s10
	s_addc_u32 s3, s41, 0
	s_add_u32 s8, s42, s10
	s_mov_b32 s7, 0
	s_addc_u32 s9, s43, 0
	s_cmp_lg_u64 s[0:1], s[6:7]
	s_cbranch_scc0 .LBB29_203
; %bb.197:
	global_load_ubyte v1, v0, s[8:9]
	global_load_ubyte v4, v0, s[2:3]
	global_load_ubyte v5, v0, s[8:9] offset:128
	global_load_ubyte v6, v0, s[2:3] offset:128
	v_mov_b32_e32 v7, 58
	s_movk_i32 s11, 0xc6
	v_mbcnt_lo_u32_b32 v2, -1, 0
	v_mbcnt_hi_u32_b32 v2, -1, v2
	v_lshlrev_b32_e32 v3, 2, v2
	s_waitcnt vmcnt(3)
	v_add_u16_e32 v1, 0xffbf, v1
	s_waitcnt vmcnt(2)
	v_add_u16_e32 v4, 0xff85, v4
	;; [unrolled: 2-line block ×4, first 2 shown]
	v_cmp_lt_u16_sdwa s[0:1], v1, v7 src0_sel:BYTE_0 src1_sel:DWORD
	v_cmp_lt_u16_sdwa s[12:13], v4, s11 src0_sel:BYTE_0 src1_sel:DWORD
	;; [unrolled: 1-line block ×4, first 2 shown]
	s_and_b64 s[0:1], s[0:1], s[12:13]
	v_cndmask_b32_e64 v1, 0, 1, s[0:1]
	s_and_b64 vcc, s[14:15], s[16:17]
	v_addc_co_u32_e64 v4, s[0:1], 0, v1, vcc
	s_nop 1
	v_mov_b32_dpp v4, v4 quad_perm:[1,0,3,2] row_mask:0xf bank_mask:0xf bound_ctrl:1
	v_addc_co_u32_e32 v1, vcc, v4, v1, vcc
	v_or_b32_e32 v4, 0xfc, v3
	s_nop 0
	v_add_u32_dpp v1, v1, v1 quad_perm:[2,3,0,1] row_mask:0xf bank_mask:0xf bound_ctrl:1
	v_cmp_eq_u32_e32 vcc, 0, v2
	s_nop 0
	v_add_u32_dpp v1, v1, v1 row_ror:4 row_mask:0xf bank_mask:0xf bound_ctrl:1
	s_nop 1
	v_add_u32_dpp v1, v1, v1 row_ror:8 row_mask:0xf bank_mask:0xf bound_ctrl:1
	s_nop 1
	v_add_u32_dpp v1, v1, v1 row_bcast:15 row_mask:0xf bank_mask:0xf bound_ctrl:1
	s_nop 1
	v_add_u32_dpp v1, v1, v1 row_bcast:31 row_mask:0xf bank_mask:0xf bound_ctrl:1
	ds_bpermute_b32 v1, v4, v1
	s_and_saveexec_b64 s[0:1], vcc
	s_cbranch_execz .LBB29_199
; %bb.198:
	v_lshrrev_b32_e32 v4, 4, v0
	v_and_b32_e32 v4, 4, v4
	s_waitcnt lgkmcnt(0)
	ds_write_b32 v4, v1 offset:16
.LBB29_199:
	s_or_b64 exec, exec, s[0:1]
	v_cmp_gt_u32_e32 vcc, 64, v0
	s_waitcnt lgkmcnt(0)
	s_barrier
	s_and_saveexec_b64 s[0:1], vcc
	s_cbranch_execz .LBB29_201
; %bb.200:
	v_and_b32_e32 v1, 1, v2
	v_lshlrev_b32_e32 v1, 2, v1
	ds_read_b32 v1, v1 offset:16
	v_or_b32_e32 v2, 4, v3
	s_waitcnt lgkmcnt(0)
	ds_bpermute_b32 v2, v2, v1
	s_waitcnt lgkmcnt(0)
	v_add_u32_e32 v1, v2, v1
.LBB29_201:
	s_or_b64 exec, exec, s[0:1]
	s_mov_b64 s[0:1], 0
	s_branch .LBB29_204
.LBB29_202:
                                        ; implicit-def: $vgpr1
	s_branch .LBB29_224
.LBB29_203:
	s_mov_b64 s[0:1], -1
                                        ; implicit-def: $vgpr1
.LBB29_204:
	s_and_b64 vcc, exec, s[0:1]
	s_cbranch_vccz .LBB29_214
; %bb.205:
	s_sub_i32 s10, s36, s10
	v_cmp_gt_u32_e32 vcc, s10, v0
                                        ; implicit-def: $vgpr2_vgpr3
	s_and_saveexec_b64 s[0:1], vcc
	s_cbranch_execz .LBB29_207
; %bb.206:
	global_load_ubyte v1, v0, s[8:9]
	global_load_ubyte v2, v0, s[2:3]
	v_mov_b32_e32 v3, 58
	s_movk_i32 s11, 0xc6
	s_waitcnt vmcnt(1)
	v_add_u16_e32 v1, 0xffbf, v1
	s_waitcnt vmcnt(0)
	v_add_u16_e32 v2, 0xff85, v2
	v_cmp_lt_u16_sdwa s[12:13], v1, v3 src0_sel:BYTE_0 src1_sel:DWORD
	v_cmp_lt_u16_sdwa s[14:15], v2, s11 src0_sel:BYTE_0 src1_sel:DWORD
	s_and_b64 s[12:13], s[12:13], s[14:15]
	v_cndmask_b32_e64 v2, 0, 1, s[12:13]
.LBB29_207:
	s_or_b64 exec, exec, s[0:1]
	v_or_b32_e32 v1, 0x80, v0
	v_cmp_gt_u32_e32 vcc, s10, v1
	s_and_saveexec_b64 s[0:1], vcc
	s_cbranch_execz .LBB29_209
; %bb.208:
	global_load_ubyte v1, v0, s[8:9] offset:128
	global_load_ubyte v3, v0, s[2:3] offset:128
	v_mov_b32_e32 v4, 58
	s_movk_i32 s8, 0xc6
	s_waitcnt vmcnt(1)
	v_add_u16_e32 v1, 0xffbf, v1
	s_waitcnt vmcnt(0)
	v_add_u16_e32 v3, 0xff85, v3
	v_cmp_lt_u16_sdwa s[2:3], v1, v4 src0_sel:BYTE_0 src1_sel:DWORD
	v_cmp_lt_u16_sdwa s[8:9], v3, s8 src0_sel:BYTE_0 src1_sel:DWORD
	s_and_b64 s[2:3], s[2:3], s[8:9]
	v_cndmask_b32_e64 v3, 0, 1, s[2:3]
.LBB29_209:
	s_or_b64 exec, exec, s[0:1]
	v_cndmask_b32_e32 v1, 0, v3, vcc
	v_add_u32_e32 v1, v1, v2
	v_mbcnt_lo_u32_b32 v2, -1, 0
	v_mbcnt_hi_u32_b32 v2, -1, v2
	v_and_b32_e32 v3, 63, v2
	v_cmp_ne_u32_e32 vcc, 63, v3
	v_addc_co_u32_e32 v4, vcc, 0, v2, vcc
	v_lshlrev_b32_e32 v4, 2, v4
	ds_bpermute_b32 v4, v4, v1
	s_min_u32 s2, s10, 0x80
	v_and_b32_e32 v5, 64, v0
	v_sub_u32_e64 v5, s2, v5 clamp
	v_add_u32_e32 v6, 1, v3
	v_cmp_lt_u32_e32 vcc, v6, v5
	s_waitcnt lgkmcnt(0)
	v_cndmask_b32_e32 v4, 0, v4, vcc
	v_cmp_gt_u32_e32 vcc, 62, v3
	v_add_u32_e32 v1, v4, v1
	v_cndmask_b32_e64 v4, 0, 1, vcc
	v_lshlrev_b32_e32 v4, 1, v4
	v_add_lshl_u32 v4, v4, v2, 2
	ds_bpermute_b32 v4, v4, v1
	v_add_u32_e32 v6, 2, v3
	v_cmp_lt_u32_e32 vcc, v6, v5
	v_add_u32_e32 v6, 4, v3
	s_waitcnt lgkmcnt(0)
	v_cndmask_b32_e32 v4, 0, v4, vcc
	v_cmp_gt_u32_e32 vcc, 60, v3
	v_add_u32_e32 v1, v1, v4
	v_cndmask_b32_e64 v4, 0, 1, vcc
	v_lshlrev_b32_e32 v4, 2, v4
	v_add_lshl_u32 v4, v4, v2, 2
	ds_bpermute_b32 v4, v4, v1
	v_cmp_lt_u32_e32 vcc, v6, v5
	v_add_u32_e32 v6, 8, v3
	s_waitcnt lgkmcnt(0)
	v_cndmask_b32_e32 v4, 0, v4, vcc
	v_cmp_gt_u32_e32 vcc, 56, v3
	v_add_u32_e32 v1, v1, v4
	v_cndmask_b32_e64 v4, 0, 1, vcc
	v_lshlrev_b32_e32 v4, 3, v4
	v_add_lshl_u32 v4, v4, v2, 2
	ds_bpermute_b32 v4, v4, v1
	;; [unrolled: 10-line block ×3, first 2 shown]
	v_cmp_lt_u32_e32 vcc, v6, v5
	s_waitcnt lgkmcnt(0)
	v_cndmask_b32_e32 v4, 0, v4, vcc
	v_cmp_gt_u32_e32 vcc, 32, v3
	v_add_u32_e32 v1, v1, v4
	v_cndmask_b32_e64 v4, 0, 1, vcc
	v_lshlrev_b32_e32 v4, 5, v4
	v_add_lshl_u32 v4, v4, v2, 2
	ds_bpermute_b32 v4, v4, v1
	v_add_u32_e32 v3, 32, v3
	v_cmp_lt_u32_e32 vcc, v3, v5
	s_waitcnt lgkmcnt(0)
	v_cndmask_b32_e32 v3, 0, v4, vcc
	v_add_u32_e32 v1, v1, v3
	v_cmp_eq_u32_e32 vcc, 0, v2
	s_and_saveexec_b64 s[0:1], vcc
	s_cbranch_execz .LBB29_211
; %bb.210:
	v_lshrrev_b32_e32 v3, 4, v0
	v_and_b32_e32 v3, 4, v3
	ds_write_b32 v3, v1 offset:48
.LBB29_211:
	s_or_b64 exec, exec, s[0:1]
	v_cmp_gt_u32_e32 vcc, 2, v0
	s_waitcnt lgkmcnt(0)
	s_barrier
	s_and_saveexec_b64 s[0:1], vcc
	s_cbranch_execz .LBB29_213
; %bb.212:
	v_lshlrev_b32_e32 v1, 2, v2
	ds_read_b32 v3, v1 offset:48
	v_or_b32_e32 v1, 4, v1
	s_add_i32 s2, s2, 63
	v_and_b32_e32 v2, 1, v2
	s_lshr_b32 s2, s2, 6
	s_waitcnt lgkmcnt(0)
	ds_bpermute_b32 v1, v1, v3
	v_add_u32_e32 v2, 1, v2
	v_cmp_gt_u32_e32 vcc, s2, v2
	s_waitcnt lgkmcnt(0)
	v_cndmask_b32_e32 v1, 0, v1, vcc
	v_add_u32_e32 v1, v1, v3
.LBB29_213:
	s_or_b64 exec, exec, s[0:1]
.LBB29_214:
	v_cmp_eq_u32_e64 s[2:3], 0, v0
	s_branch .LBB29_224
.LBB29_215:
	s_cmp_eq_u32 s33, 1
	s_cbranch_scc0 .LBB29_223
; %bb.216:
	s_lshl_b32 s2, s6, 7
	s_mov_b32 s7, 0
	s_lshr_b64 s[0:1], s[36:37], 7
	s_cmp_lg_u64 s[0:1], s[6:7]
	v_mbcnt_lo_u32_b32 v2, -1, 0
	s_cbranch_scc0 .LBB29_227
; %bb.217:
	s_add_u32 s0, s40, s2
	s_addc_u32 s1, s41, 0
	s_add_u32 s8, s42, s2
	global_load_ubyte v1, v0, s[0:1]
	s_addc_u32 s9, s43, 0
	global_load_ubyte v5, v0, s[8:9]
	s_movk_i32 s0, 0xc6
	v_mov_b32_e32 v6, 58
	v_mbcnt_hi_u32_b32 v3, -1, v2
	v_lshlrev_b32_e32 v4, 2, v3
	s_waitcnt vmcnt(1)
	v_add_u16_e32 v1, 0xff85, v1
	v_cmp_lt_u16_sdwa s[0:1], v1, s0 src0_sel:BYTE_0 src1_sel:DWORD
	s_waitcnt vmcnt(0)
	v_add_u16_e32 v1, 0xffbf, v5
	v_cmp_lt_u16_sdwa s[8:9], v1, v6 src0_sel:BYTE_0 src1_sel:DWORD
	s_and_b64 vcc, s[8:9], s[0:1]
	v_cndmask_b32_e64 v1, 0, 1, vcc
	s_nop 1
	v_mov_b32_dpp v1, v1 quad_perm:[1,0,3,2] row_mask:0xf bank_mask:0xf bound_ctrl:1
	v_addc_co_u32_e64 v5, s[0:1], 0, v1, vcc
	s_nop 1
	v_mov_b32_dpp v5, v5 quad_perm:[2,3,0,1] row_mask:0xf bank_mask:0xf bound_ctrl:1
	v_addc_co_u32_e32 v1, vcc, v5, v1, vcc
	v_or_b32_e32 v5, 0xfc, v4
	s_nop 0
	v_add_u32_dpp v1, v1, v1 row_ror:4 row_mask:0xf bank_mask:0xf bound_ctrl:1
	v_cmp_eq_u32_e32 vcc, 0, v3
	s_nop 0
	v_add_u32_dpp v1, v1, v1 row_ror:8 row_mask:0xf bank_mask:0xf bound_ctrl:1
	s_nop 1
	v_add_u32_dpp v1, v1, v1 row_bcast:15 row_mask:0xf bank_mask:0xf bound_ctrl:1
	s_nop 1
	v_add_u32_dpp v1, v1, v1 row_bcast:31 row_mask:0xf bank_mask:0xf bound_ctrl:1
	ds_bpermute_b32 v1, v5, v1
	s_and_saveexec_b64 s[0:1], vcc
	s_cbranch_execz .LBB29_219
; %bb.218:
	v_lshrrev_b32_e32 v5, 4, v0
	v_and_b32_e32 v5, 4, v5
	s_waitcnt lgkmcnt(0)
	ds_write_b32 v5, v1 offset:8
.LBB29_219:
	s_or_b64 exec, exec, s[0:1]
	v_cmp_gt_u32_e32 vcc, 64, v0
	s_waitcnt lgkmcnt(0)
	s_barrier
	s_and_saveexec_b64 s[0:1], vcc
	s_cbranch_execz .LBB29_221
; %bb.220:
	v_and_b32_e32 v1, 1, v3
	v_lshlrev_b32_e32 v1, 2, v1
	ds_read_b32 v1, v1 offset:8
	v_or_b32_e32 v3, 4, v4
	s_waitcnt lgkmcnt(0)
	ds_bpermute_b32 v3, v3, v1
	s_waitcnt lgkmcnt(0)
	v_add_u32_e32 v1, v3, v1
.LBB29_221:
	s_or_b64 exec, exec, s[0:1]
.LBB29_222:
	v_cmp_eq_u32_e64 s[2:3], 0, v0
	s_and_saveexec_b64 s[0:1], s[2:3]
	s_cbranch_execnz .LBB29_225
	s_branch .LBB29_226
.LBB29_223:
                                        ; implicit-def: $vgpr1
                                        ; implicit-def: $sgpr6_sgpr7
.LBB29_224:
	s_and_saveexec_b64 s[0:1], s[2:3]
	s_cbranch_execz .LBB29_226
.LBB29_225:
	s_lshl_b64 s[0:1], s[6:7], 2
	s_load_dword s2, s[4:5], 0x30
	s_add_u32 s0, s38, s0
	s_addc_u32 s1, s39, s1
	s_cmp_lg_u64 s[36:37], 0
	s_cselect_b64 vcc, -1, 0
	v_cndmask_b32_e32 v1, 0, v1, vcc
	v_mov_b32_e32 v0, 0
	s_waitcnt lgkmcnt(0)
	v_add_u32_e32 v1, s2, v1
	global_store_dword v0, v1, s[0:1]
.LBB29_226:
	s_endpgm
.LBB29_227:
                                        ; implicit-def: $vgpr1
	s_cbranch_execz .LBB29_222
; %bb.228:
	s_sub_i32 s3, s36, s2
	v_cmp_gt_u32_e32 vcc, s3, v0
                                        ; implicit-def: $vgpr1
	s_and_saveexec_b64 s[0:1], vcc
	s_cbranch_execz .LBB29_230
; %bb.229:
	s_add_u32 s8, s40, s2
	s_addc_u32 s9, s41, 0
	s_add_u32 s10, s42, s2
	global_load_ubyte v1, v0, s[8:9]
	s_addc_u32 s11, s43, 0
	global_load_ubyte v3, v0, s[10:11]
	s_movk_i32 s2, 0xc6
	v_mov_b32_e32 v4, 58
	s_waitcnt vmcnt(1)
	v_add_u16_e32 v1, 0xff85, v1
	v_cmp_lt_u16_sdwa s[8:9], v1, s2 src0_sel:BYTE_0 src1_sel:DWORD
	s_waitcnt vmcnt(0)
	v_add_u16_e32 v1, 0xffbf, v3
	v_cmp_lt_u16_sdwa s[10:11], v1, v4 src0_sel:BYTE_0 src1_sel:DWORD
	s_and_b64 s[8:9], s[10:11], s[8:9]
	v_cndmask_b32_e64 v1, 0, 1, s[8:9]
.LBB29_230:
	s_or_b64 exec, exec, s[0:1]
	v_mbcnt_hi_u32_b32 v2, -1, v2
	v_and_b32_e32 v3, 63, v2
	v_cmp_ne_u32_e32 vcc, 63, v3
	v_addc_co_u32_e32 v4, vcc, 0, v2, vcc
	v_lshlrev_b32_e32 v4, 2, v4
	ds_bpermute_b32 v4, v4, v1
	s_min_u32 s2, s3, 0x80
	v_and_b32_e32 v5, 64, v0
	v_sub_u32_e64 v5, s2, v5 clamp
	v_add_u32_e32 v6, 1, v3
	v_cmp_lt_u32_e32 vcc, v6, v5
	s_waitcnt lgkmcnt(0)
	v_cndmask_b32_e32 v4, 0, v4, vcc
	v_cmp_gt_u32_e32 vcc, 62, v3
	v_add_u32_e32 v1, v4, v1
	v_cndmask_b32_e64 v4, 0, 1, vcc
	v_lshlrev_b32_e32 v4, 1, v4
	v_add_lshl_u32 v4, v4, v2, 2
	ds_bpermute_b32 v4, v4, v1
	v_add_u32_e32 v6, 2, v3
	v_cmp_lt_u32_e32 vcc, v6, v5
	v_add_u32_e32 v6, 4, v3
	s_waitcnt lgkmcnt(0)
	v_cndmask_b32_e32 v4, 0, v4, vcc
	v_cmp_gt_u32_e32 vcc, 60, v3
	v_add_u32_e32 v1, v1, v4
	v_cndmask_b32_e64 v4, 0, 1, vcc
	v_lshlrev_b32_e32 v4, 2, v4
	v_add_lshl_u32 v4, v4, v2, 2
	ds_bpermute_b32 v4, v4, v1
	v_cmp_lt_u32_e32 vcc, v6, v5
	v_add_u32_e32 v6, 8, v3
	s_waitcnt lgkmcnt(0)
	v_cndmask_b32_e32 v4, 0, v4, vcc
	v_cmp_gt_u32_e32 vcc, 56, v3
	v_add_u32_e32 v1, v1, v4
	v_cndmask_b32_e64 v4, 0, 1, vcc
	v_lshlrev_b32_e32 v4, 3, v4
	v_add_lshl_u32 v4, v4, v2, 2
	ds_bpermute_b32 v4, v4, v1
	;; [unrolled: 10-line block ×3, first 2 shown]
	v_cmp_lt_u32_e32 vcc, v6, v5
	s_waitcnt lgkmcnt(0)
	v_cndmask_b32_e32 v4, 0, v4, vcc
	v_cmp_gt_u32_e32 vcc, 32, v3
	v_add_u32_e32 v1, v1, v4
	v_cndmask_b32_e64 v4, 0, 1, vcc
	v_lshlrev_b32_e32 v4, 5, v4
	v_add_lshl_u32 v4, v4, v2, 2
	ds_bpermute_b32 v4, v4, v1
	v_add_u32_e32 v3, 32, v3
	v_cmp_lt_u32_e32 vcc, v3, v5
	s_waitcnt lgkmcnt(0)
	v_cndmask_b32_e32 v3, 0, v4, vcc
	v_add_u32_e32 v1, v1, v3
	v_cmp_eq_u32_e32 vcc, 0, v2
	s_and_saveexec_b64 s[0:1], vcc
	s_cbranch_execz .LBB29_232
; %bb.231:
	v_lshrrev_b32_e32 v3, 4, v0
	v_and_b32_e32 v3, 4, v3
	ds_write_b32 v3, v1 offset:48
.LBB29_232:
	s_or_b64 exec, exec, s[0:1]
	v_cmp_gt_u32_e32 vcc, 2, v0
	s_waitcnt lgkmcnt(0)
	s_barrier
	s_and_saveexec_b64 s[0:1], vcc
	s_cbranch_execz .LBB29_234
; %bb.233:
	v_lshlrev_b32_e32 v1, 2, v2
	ds_read_b32 v3, v1 offset:48
	v_or_b32_e32 v1, 4, v1
	s_add_i32 s2, s2, 63
	v_and_b32_e32 v2, 1, v2
	s_lshr_b32 s2, s2, 6
	s_waitcnt lgkmcnt(0)
	ds_bpermute_b32 v1, v1, v3
	v_add_u32_e32 v2, 1, v2
	v_cmp_gt_u32_e32 vcc, s2, v2
	s_waitcnt lgkmcnt(0)
	v_cndmask_b32_e32 v1, 0, v1, vcc
	v_add_u32_e32 v1, v1, v3
.LBB29_234:
	s_or_b64 exec, exec, s[0:1]
	v_cmp_eq_u32_e64 s[2:3], 0, v0
	s_and_saveexec_b64 s[0:1], s[2:3]
	s_cbranch_execnz .LBB29_225
	s_branch .LBB29_226
	.section	.rodata,"a",@progbits
	.p2align	6, 0x0
	.amdhsa_kernel _ZN7rocprim17ROCPRIM_400000_NS6detail17trampoline_kernelINS0_14default_configENS1_22reduce_config_selectorIiEEZNS1_11reduce_implILb1ES3_N6thrust23THRUST_200600_302600_NS11hip_rocprim35transform_pair_of_input_iterators_tIiNS8_6detail15normal_iteratorINS8_10device_ptrIKcEEEESG_13is_word_startEEPiiNS8_4plusIiEEEE10hipError_tPvRmT1_T2_T3_mT4_P12ihipStream_tbEUlT_E1_NS1_11comp_targetILNS1_3genE4ELNS1_11target_archE910ELNS1_3gpuE8ELNS1_3repE0EEENS1_30default_config_static_selectorELNS0_4arch9wavefront6targetE1EEEvSP_
		.amdhsa_group_segment_fixed_size 56
		.amdhsa_private_segment_fixed_size 0
		.amdhsa_kernarg_size 56
		.amdhsa_user_sgpr_count 6
		.amdhsa_user_sgpr_private_segment_buffer 1
		.amdhsa_user_sgpr_dispatch_ptr 0
		.amdhsa_user_sgpr_queue_ptr 0
		.amdhsa_user_sgpr_kernarg_segment_ptr 1
		.amdhsa_user_sgpr_dispatch_id 0
		.amdhsa_user_sgpr_flat_scratch_init 0
		.amdhsa_user_sgpr_kernarg_preload_length 0
		.amdhsa_user_sgpr_kernarg_preload_offset 0
		.amdhsa_user_sgpr_private_segment_size 0
		.amdhsa_uses_dynamic_stack 0
		.amdhsa_system_sgpr_private_segment_wavefront_offset 0
		.amdhsa_system_sgpr_workgroup_id_x 1
		.amdhsa_system_sgpr_workgroup_id_y 0
		.amdhsa_system_sgpr_workgroup_id_z 0
		.amdhsa_system_sgpr_workgroup_info 0
		.amdhsa_system_vgpr_workitem_id 0
		.amdhsa_next_free_vgpr 43
		.amdhsa_next_free_sgpr 86
		.amdhsa_accum_offset 44
		.amdhsa_reserve_vcc 1
		.amdhsa_reserve_flat_scratch 0
		.amdhsa_float_round_mode_32 0
		.amdhsa_float_round_mode_16_64 0
		.amdhsa_float_denorm_mode_32 3
		.amdhsa_float_denorm_mode_16_64 3
		.amdhsa_dx10_clamp 1
		.amdhsa_ieee_mode 1
		.amdhsa_fp16_overflow 0
		.amdhsa_tg_split 0
		.amdhsa_exception_fp_ieee_invalid_op 0
		.amdhsa_exception_fp_denorm_src 0
		.amdhsa_exception_fp_ieee_div_zero 0
		.amdhsa_exception_fp_ieee_overflow 0
		.amdhsa_exception_fp_ieee_underflow 0
		.amdhsa_exception_fp_ieee_inexact 0
		.amdhsa_exception_int_div_zero 0
	.end_amdhsa_kernel
	.section	.text._ZN7rocprim17ROCPRIM_400000_NS6detail17trampoline_kernelINS0_14default_configENS1_22reduce_config_selectorIiEEZNS1_11reduce_implILb1ES3_N6thrust23THRUST_200600_302600_NS11hip_rocprim35transform_pair_of_input_iterators_tIiNS8_6detail15normal_iteratorINS8_10device_ptrIKcEEEESG_13is_word_startEEPiiNS8_4plusIiEEEE10hipError_tPvRmT1_T2_T3_mT4_P12ihipStream_tbEUlT_E1_NS1_11comp_targetILNS1_3genE4ELNS1_11target_archE910ELNS1_3gpuE8ELNS1_3repE0EEENS1_30default_config_static_selectorELNS0_4arch9wavefront6targetE1EEEvSP_,"axG",@progbits,_ZN7rocprim17ROCPRIM_400000_NS6detail17trampoline_kernelINS0_14default_configENS1_22reduce_config_selectorIiEEZNS1_11reduce_implILb1ES3_N6thrust23THRUST_200600_302600_NS11hip_rocprim35transform_pair_of_input_iterators_tIiNS8_6detail15normal_iteratorINS8_10device_ptrIKcEEEESG_13is_word_startEEPiiNS8_4plusIiEEEE10hipError_tPvRmT1_T2_T3_mT4_P12ihipStream_tbEUlT_E1_NS1_11comp_targetILNS1_3genE4ELNS1_11target_archE910ELNS1_3gpuE8ELNS1_3repE0EEENS1_30default_config_static_selectorELNS0_4arch9wavefront6targetE1EEEvSP_,comdat
.Lfunc_end29:
	.size	_ZN7rocprim17ROCPRIM_400000_NS6detail17trampoline_kernelINS0_14default_configENS1_22reduce_config_selectorIiEEZNS1_11reduce_implILb1ES3_N6thrust23THRUST_200600_302600_NS11hip_rocprim35transform_pair_of_input_iterators_tIiNS8_6detail15normal_iteratorINS8_10device_ptrIKcEEEESG_13is_word_startEEPiiNS8_4plusIiEEEE10hipError_tPvRmT1_T2_T3_mT4_P12ihipStream_tbEUlT_E1_NS1_11comp_targetILNS1_3genE4ELNS1_11target_archE910ELNS1_3gpuE8ELNS1_3repE0EEENS1_30default_config_static_selectorELNS0_4arch9wavefront6targetE1EEEvSP_, .Lfunc_end29-_ZN7rocprim17ROCPRIM_400000_NS6detail17trampoline_kernelINS0_14default_configENS1_22reduce_config_selectorIiEEZNS1_11reduce_implILb1ES3_N6thrust23THRUST_200600_302600_NS11hip_rocprim35transform_pair_of_input_iterators_tIiNS8_6detail15normal_iteratorINS8_10device_ptrIKcEEEESG_13is_word_startEEPiiNS8_4plusIiEEEE10hipError_tPvRmT1_T2_T3_mT4_P12ihipStream_tbEUlT_E1_NS1_11comp_targetILNS1_3genE4ELNS1_11target_archE910ELNS1_3gpuE8ELNS1_3repE0EEENS1_30default_config_static_selectorELNS0_4arch9wavefront6targetE1EEEvSP_
                                        ; -- End function
	.section	.AMDGPU.csdata,"",@progbits
; Kernel info:
; codeLenInByte = 15664
; NumSgprs: 90
; NumVgprs: 43
; NumAgprs: 0
; TotalNumVgprs: 43
; ScratchSize: 0
; MemoryBound: 0
; FloatMode: 240
; IeeeMode: 1
; LDSByteSize: 56 bytes/workgroup (compile time only)
; SGPRBlocks: 11
; VGPRBlocks: 5
; NumSGPRsForWavesPerEU: 90
; NumVGPRsForWavesPerEU: 43
; AccumOffset: 44
; Occupancy: 8
; WaveLimiterHint : 0
; COMPUTE_PGM_RSRC2:SCRATCH_EN: 0
; COMPUTE_PGM_RSRC2:USER_SGPR: 6
; COMPUTE_PGM_RSRC2:TRAP_HANDLER: 0
; COMPUTE_PGM_RSRC2:TGID_X_EN: 1
; COMPUTE_PGM_RSRC2:TGID_Y_EN: 0
; COMPUTE_PGM_RSRC2:TGID_Z_EN: 0
; COMPUTE_PGM_RSRC2:TIDIG_COMP_CNT: 0
; COMPUTE_PGM_RSRC3_GFX90A:ACCUM_OFFSET: 10
; COMPUTE_PGM_RSRC3_GFX90A:TG_SPLIT: 0
	.section	.text._ZN7rocprim17ROCPRIM_400000_NS6detail17trampoline_kernelINS0_14default_configENS1_22reduce_config_selectorIiEEZNS1_11reduce_implILb1ES3_N6thrust23THRUST_200600_302600_NS11hip_rocprim35transform_pair_of_input_iterators_tIiNS8_6detail15normal_iteratorINS8_10device_ptrIKcEEEESG_13is_word_startEEPiiNS8_4plusIiEEEE10hipError_tPvRmT1_T2_T3_mT4_P12ihipStream_tbEUlT_E1_NS1_11comp_targetILNS1_3genE3ELNS1_11target_archE908ELNS1_3gpuE7ELNS1_3repE0EEENS1_30default_config_static_selectorELNS0_4arch9wavefront6targetE1EEEvSP_,"axG",@progbits,_ZN7rocprim17ROCPRIM_400000_NS6detail17trampoline_kernelINS0_14default_configENS1_22reduce_config_selectorIiEEZNS1_11reduce_implILb1ES3_N6thrust23THRUST_200600_302600_NS11hip_rocprim35transform_pair_of_input_iterators_tIiNS8_6detail15normal_iteratorINS8_10device_ptrIKcEEEESG_13is_word_startEEPiiNS8_4plusIiEEEE10hipError_tPvRmT1_T2_T3_mT4_P12ihipStream_tbEUlT_E1_NS1_11comp_targetILNS1_3genE3ELNS1_11target_archE908ELNS1_3gpuE7ELNS1_3repE0EEENS1_30default_config_static_selectorELNS0_4arch9wavefront6targetE1EEEvSP_,comdat
	.protected	_ZN7rocprim17ROCPRIM_400000_NS6detail17trampoline_kernelINS0_14default_configENS1_22reduce_config_selectorIiEEZNS1_11reduce_implILb1ES3_N6thrust23THRUST_200600_302600_NS11hip_rocprim35transform_pair_of_input_iterators_tIiNS8_6detail15normal_iteratorINS8_10device_ptrIKcEEEESG_13is_word_startEEPiiNS8_4plusIiEEEE10hipError_tPvRmT1_T2_T3_mT4_P12ihipStream_tbEUlT_E1_NS1_11comp_targetILNS1_3genE3ELNS1_11target_archE908ELNS1_3gpuE7ELNS1_3repE0EEENS1_30default_config_static_selectorELNS0_4arch9wavefront6targetE1EEEvSP_ ; -- Begin function _ZN7rocprim17ROCPRIM_400000_NS6detail17trampoline_kernelINS0_14default_configENS1_22reduce_config_selectorIiEEZNS1_11reduce_implILb1ES3_N6thrust23THRUST_200600_302600_NS11hip_rocprim35transform_pair_of_input_iterators_tIiNS8_6detail15normal_iteratorINS8_10device_ptrIKcEEEESG_13is_word_startEEPiiNS8_4plusIiEEEE10hipError_tPvRmT1_T2_T3_mT4_P12ihipStream_tbEUlT_E1_NS1_11comp_targetILNS1_3genE3ELNS1_11target_archE908ELNS1_3gpuE7ELNS1_3repE0EEENS1_30default_config_static_selectorELNS0_4arch9wavefront6targetE1EEEvSP_
	.globl	_ZN7rocprim17ROCPRIM_400000_NS6detail17trampoline_kernelINS0_14default_configENS1_22reduce_config_selectorIiEEZNS1_11reduce_implILb1ES3_N6thrust23THRUST_200600_302600_NS11hip_rocprim35transform_pair_of_input_iterators_tIiNS8_6detail15normal_iteratorINS8_10device_ptrIKcEEEESG_13is_word_startEEPiiNS8_4plusIiEEEE10hipError_tPvRmT1_T2_T3_mT4_P12ihipStream_tbEUlT_E1_NS1_11comp_targetILNS1_3genE3ELNS1_11target_archE908ELNS1_3gpuE7ELNS1_3repE0EEENS1_30default_config_static_selectorELNS0_4arch9wavefront6targetE1EEEvSP_
	.p2align	8
	.type	_ZN7rocprim17ROCPRIM_400000_NS6detail17trampoline_kernelINS0_14default_configENS1_22reduce_config_selectorIiEEZNS1_11reduce_implILb1ES3_N6thrust23THRUST_200600_302600_NS11hip_rocprim35transform_pair_of_input_iterators_tIiNS8_6detail15normal_iteratorINS8_10device_ptrIKcEEEESG_13is_word_startEEPiiNS8_4plusIiEEEE10hipError_tPvRmT1_T2_T3_mT4_P12ihipStream_tbEUlT_E1_NS1_11comp_targetILNS1_3genE3ELNS1_11target_archE908ELNS1_3gpuE7ELNS1_3repE0EEENS1_30default_config_static_selectorELNS0_4arch9wavefront6targetE1EEEvSP_,@function
_ZN7rocprim17ROCPRIM_400000_NS6detail17trampoline_kernelINS0_14default_configENS1_22reduce_config_selectorIiEEZNS1_11reduce_implILb1ES3_N6thrust23THRUST_200600_302600_NS11hip_rocprim35transform_pair_of_input_iterators_tIiNS8_6detail15normal_iteratorINS8_10device_ptrIKcEEEESG_13is_word_startEEPiiNS8_4plusIiEEEE10hipError_tPvRmT1_T2_T3_mT4_P12ihipStream_tbEUlT_E1_NS1_11comp_targetILNS1_3genE3ELNS1_11target_archE908ELNS1_3gpuE7ELNS1_3repE0EEENS1_30default_config_static_selectorELNS0_4arch9wavefront6targetE1EEEvSP_: ; @_ZN7rocprim17ROCPRIM_400000_NS6detail17trampoline_kernelINS0_14default_configENS1_22reduce_config_selectorIiEEZNS1_11reduce_implILb1ES3_N6thrust23THRUST_200600_302600_NS11hip_rocprim35transform_pair_of_input_iterators_tIiNS8_6detail15normal_iteratorINS8_10device_ptrIKcEEEESG_13is_word_startEEPiiNS8_4plusIiEEEE10hipError_tPvRmT1_T2_T3_mT4_P12ihipStream_tbEUlT_E1_NS1_11comp_targetILNS1_3genE3ELNS1_11target_archE908ELNS1_3gpuE7ELNS1_3repE0EEENS1_30default_config_static_selectorELNS0_4arch9wavefront6targetE1EEEvSP_
; %bb.0:
	.section	.rodata,"a",@progbits
	.p2align	6, 0x0
	.amdhsa_kernel _ZN7rocprim17ROCPRIM_400000_NS6detail17trampoline_kernelINS0_14default_configENS1_22reduce_config_selectorIiEEZNS1_11reduce_implILb1ES3_N6thrust23THRUST_200600_302600_NS11hip_rocprim35transform_pair_of_input_iterators_tIiNS8_6detail15normal_iteratorINS8_10device_ptrIKcEEEESG_13is_word_startEEPiiNS8_4plusIiEEEE10hipError_tPvRmT1_T2_T3_mT4_P12ihipStream_tbEUlT_E1_NS1_11comp_targetILNS1_3genE3ELNS1_11target_archE908ELNS1_3gpuE7ELNS1_3repE0EEENS1_30default_config_static_selectorELNS0_4arch9wavefront6targetE1EEEvSP_
		.amdhsa_group_segment_fixed_size 0
		.amdhsa_private_segment_fixed_size 0
		.amdhsa_kernarg_size 56
		.amdhsa_user_sgpr_count 6
		.amdhsa_user_sgpr_private_segment_buffer 1
		.amdhsa_user_sgpr_dispatch_ptr 0
		.amdhsa_user_sgpr_queue_ptr 0
		.amdhsa_user_sgpr_kernarg_segment_ptr 1
		.amdhsa_user_sgpr_dispatch_id 0
		.amdhsa_user_sgpr_flat_scratch_init 0
		.amdhsa_user_sgpr_kernarg_preload_length 0
		.amdhsa_user_sgpr_kernarg_preload_offset 0
		.amdhsa_user_sgpr_private_segment_size 0
		.amdhsa_uses_dynamic_stack 0
		.amdhsa_system_sgpr_private_segment_wavefront_offset 0
		.amdhsa_system_sgpr_workgroup_id_x 1
		.amdhsa_system_sgpr_workgroup_id_y 0
		.amdhsa_system_sgpr_workgroup_id_z 0
		.amdhsa_system_sgpr_workgroup_info 0
		.amdhsa_system_vgpr_workitem_id 0
		.amdhsa_next_free_vgpr 1
		.amdhsa_next_free_sgpr 0
		.amdhsa_accum_offset 4
		.amdhsa_reserve_vcc 0
		.amdhsa_reserve_flat_scratch 0
		.amdhsa_float_round_mode_32 0
		.amdhsa_float_round_mode_16_64 0
		.amdhsa_float_denorm_mode_32 3
		.amdhsa_float_denorm_mode_16_64 3
		.amdhsa_dx10_clamp 1
		.amdhsa_ieee_mode 1
		.amdhsa_fp16_overflow 0
		.amdhsa_tg_split 0
		.amdhsa_exception_fp_ieee_invalid_op 0
		.amdhsa_exception_fp_denorm_src 0
		.amdhsa_exception_fp_ieee_div_zero 0
		.amdhsa_exception_fp_ieee_overflow 0
		.amdhsa_exception_fp_ieee_underflow 0
		.amdhsa_exception_fp_ieee_inexact 0
		.amdhsa_exception_int_div_zero 0
	.end_amdhsa_kernel
	.section	.text._ZN7rocprim17ROCPRIM_400000_NS6detail17trampoline_kernelINS0_14default_configENS1_22reduce_config_selectorIiEEZNS1_11reduce_implILb1ES3_N6thrust23THRUST_200600_302600_NS11hip_rocprim35transform_pair_of_input_iterators_tIiNS8_6detail15normal_iteratorINS8_10device_ptrIKcEEEESG_13is_word_startEEPiiNS8_4plusIiEEEE10hipError_tPvRmT1_T2_T3_mT4_P12ihipStream_tbEUlT_E1_NS1_11comp_targetILNS1_3genE3ELNS1_11target_archE908ELNS1_3gpuE7ELNS1_3repE0EEENS1_30default_config_static_selectorELNS0_4arch9wavefront6targetE1EEEvSP_,"axG",@progbits,_ZN7rocprim17ROCPRIM_400000_NS6detail17trampoline_kernelINS0_14default_configENS1_22reduce_config_selectorIiEEZNS1_11reduce_implILb1ES3_N6thrust23THRUST_200600_302600_NS11hip_rocprim35transform_pair_of_input_iterators_tIiNS8_6detail15normal_iteratorINS8_10device_ptrIKcEEEESG_13is_word_startEEPiiNS8_4plusIiEEEE10hipError_tPvRmT1_T2_T3_mT4_P12ihipStream_tbEUlT_E1_NS1_11comp_targetILNS1_3genE3ELNS1_11target_archE908ELNS1_3gpuE7ELNS1_3repE0EEENS1_30default_config_static_selectorELNS0_4arch9wavefront6targetE1EEEvSP_,comdat
.Lfunc_end30:
	.size	_ZN7rocprim17ROCPRIM_400000_NS6detail17trampoline_kernelINS0_14default_configENS1_22reduce_config_selectorIiEEZNS1_11reduce_implILb1ES3_N6thrust23THRUST_200600_302600_NS11hip_rocprim35transform_pair_of_input_iterators_tIiNS8_6detail15normal_iteratorINS8_10device_ptrIKcEEEESG_13is_word_startEEPiiNS8_4plusIiEEEE10hipError_tPvRmT1_T2_T3_mT4_P12ihipStream_tbEUlT_E1_NS1_11comp_targetILNS1_3genE3ELNS1_11target_archE908ELNS1_3gpuE7ELNS1_3repE0EEENS1_30default_config_static_selectorELNS0_4arch9wavefront6targetE1EEEvSP_, .Lfunc_end30-_ZN7rocprim17ROCPRIM_400000_NS6detail17trampoline_kernelINS0_14default_configENS1_22reduce_config_selectorIiEEZNS1_11reduce_implILb1ES3_N6thrust23THRUST_200600_302600_NS11hip_rocprim35transform_pair_of_input_iterators_tIiNS8_6detail15normal_iteratorINS8_10device_ptrIKcEEEESG_13is_word_startEEPiiNS8_4plusIiEEEE10hipError_tPvRmT1_T2_T3_mT4_P12ihipStream_tbEUlT_E1_NS1_11comp_targetILNS1_3genE3ELNS1_11target_archE908ELNS1_3gpuE7ELNS1_3repE0EEENS1_30default_config_static_selectorELNS0_4arch9wavefront6targetE1EEEvSP_
                                        ; -- End function
	.section	.AMDGPU.csdata,"",@progbits
; Kernel info:
; codeLenInByte = 0
; NumSgprs: 4
; NumVgprs: 0
; NumAgprs: 0
; TotalNumVgprs: 0
; ScratchSize: 0
; MemoryBound: 0
; FloatMode: 240
; IeeeMode: 1
; LDSByteSize: 0 bytes/workgroup (compile time only)
; SGPRBlocks: 0
; VGPRBlocks: 0
; NumSGPRsForWavesPerEU: 4
; NumVGPRsForWavesPerEU: 1
; AccumOffset: 4
; Occupancy: 8
; WaveLimiterHint : 0
; COMPUTE_PGM_RSRC2:SCRATCH_EN: 0
; COMPUTE_PGM_RSRC2:USER_SGPR: 6
; COMPUTE_PGM_RSRC2:TRAP_HANDLER: 0
; COMPUTE_PGM_RSRC2:TGID_X_EN: 1
; COMPUTE_PGM_RSRC2:TGID_Y_EN: 0
; COMPUTE_PGM_RSRC2:TGID_Z_EN: 0
; COMPUTE_PGM_RSRC2:TIDIG_COMP_CNT: 0
; COMPUTE_PGM_RSRC3_GFX90A:ACCUM_OFFSET: 0
; COMPUTE_PGM_RSRC3_GFX90A:TG_SPLIT: 0
	.section	.text._ZN7rocprim17ROCPRIM_400000_NS6detail17trampoline_kernelINS0_14default_configENS1_22reduce_config_selectorIiEEZNS1_11reduce_implILb1ES3_N6thrust23THRUST_200600_302600_NS11hip_rocprim35transform_pair_of_input_iterators_tIiNS8_6detail15normal_iteratorINS8_10device_ptrIKcEEEESG_13is_word_startEEPiiNS8_4plusIiEEEE10hipError_tPvRmT1_T2_T3_mT4_P12ihipStream_tbEUlT_E1_NS1_11comp_targetILNS1_3genE2ELNS1_11target_archE906ELNS1_3gpuE6ELNS1_3repE0EEENS1_30default_config_static_selectorELNS0_4arch9wavefront6targetE1EEEvSP_,"axG",@progbits,_ZN7rocprim17ROCPRIM_400000_NS6detail17trampoline_kernelINS0_14default_configENS1_22reduce_config_selectorIiEEZNS1_11reduce_implILb1ES3_N6thrust23THRUST_200600_302600_NS11hip_rocprim35transform_pair_of_input_iterators_tIiNS8_6detail15normal_iteratorINS8_10device_ptrIKcEEEESG_13is_word_startEEPiiNS8_4plusIiEEEE10hipError_tPvRmT1_T2_T3_mT4_P12ihipStream_tbEUlT_E1_NS1_11comp_targetILNS1_3genE2ELNS1_11target_archE906ELNS1_3gpuE6ELNS1_3repE0EEENS1_30default_config_static_selectorELNS0_4arch9wavefront6targetE1EEEvSP_,comdat
	.protected	_ZN7rocprim17ROCPRIM_400000_NS6detail17trampoline_kernelINS0_14default_configENS1_22reduce_config_selectorIiEEZNS1_11reduce_implILb1ES3_N6thrust23THRUST_200600_302600_NS11hip_rocprim35transform_pair_of_input_iterators_tIiNS8_6detail15normal_iteratorINS8_10device_ptrIKcEEEESG_13is_word_startEEPiiNS8_4plusIiEEEE10hipError_tPvRmT1_T2_T3_mT4_P12ihipStream_tbEUlT_E1_NS1_11comp_targetILNS1_3genE2ELNS1_11target_archE906ELNS1_3gpuE6ELNS1_3repE0EEENS1_30default_config_static_selectorELNS0_4arch9wavefront6targetE1EEEvSP_ ; -- Begin function _ZN7rocprim17ROCPRIM_400000_NS6detail17trampoline_kernelINS0_14default_configENS1_22reduce_config_selectorIiEEZNS1_11reduce_implILb1ES3_N6thrust23THRUST_200600_302600_NS11hip_rocprim35transform_pair_of_input_iterators_tIiNS8_6detail15normal_iteratorINS8_10device_ptrIKcEEEESG_13is_word_startEEPiiNS8_4plusIiEEEE10hipError_tPvRmT1_T2_T3_mT4_P12ihipStream_tbEUlT_E1_NS1_11comp_targetILNS1_3genE2ELNS1_11target_archE906ELNS1_3gpuE6ELNS1_3repE0EEENS1_30default_config_static_selectorELNS0_4arch9wavefront6targetE1EEEvSP_
	.globl	_ZN7rocprim17ROCPRIM_400000_NS6detail17trampoline_kernelINS0_14default_configENS1_22reduce_config_selectorIiEEZNS1_11reduce_implILb1ES3_N6thrust23THRUST_200600_302600_NS11hip_rocprim35transform_pair_of_input_iterators_tIiNS8_6detail15normal_iteratorINS8_10device_ptrIKcEEEESG_13is_word_startEEPiiNS8_4plusIiEEEE10hipError_tPvRmT1_T2_T3_mT4_P12ihipStream_tbEUlT_E1_NS1_11comp_targetILNS1_3genE2ELNS1_11target_archE906ELNS1_3gpuE6ELNS1_3repE0EEENS1_30default_config_static_selectorELNS0_4arch9wavefront6targetE1EEEvSP_
	.p2align	8
	.type	_ZN7rocprim17ROCPRIM_400000_NS6detail17trampoline_kernelINS0_14default_configENS1_22reduce_config_selectorIiEEZNS1_11reduce_implILb1ES3_N6thrust23THRUST_200600_302600_NS11hip_rocprim35transform_pair_of_input_iterators_tIiNS8_6detail15normal_iteratorINS8_10device_ptrIKcEEEESG_13is_word_startEEPiiNS8_4plusIiEEEE10hipError_tPvRmT1_T2_T3_mT4_P12ihipStream_tbEUlT_E1_NS1_11comp_targetILNS1_3genE2ELNS1_11target_archE906ELNS1_3gpuE6ELNS1_3repE0EEENS1_30default_config_static_selectorELNS0_4arch9wavefront6targetE1EEEvSP_,@function
_ZN7rocprim17ROCPRIM_400000_NS6detail17trampoline_kernelINS0_14default_configENS1_22reduce_config_selectorIiEEZNS1_11reduce_implILb1ES3_N6thrust23THRUST_200600_302600_NS11hip_rocprim35transform_pair_of_input_iterators_tIiNS8_6detail15normal_iteratorINS8_10device_ptrIKcEEEESG_13is_word_startEEPiiNS8_4plusIiEEEE10hipError_tPvRmT1_T2_T3_mT4_P12ihipStream_tbEUlT_E1_NS1_11comp_targetILNS1_3genE2ELNS1_11target_archE906ELNS1_3gpuE6ELNS1_3repE0EEENS1_30default_config_static_selectorELNS0_4arch9wavefront6targetE1EEEvSP_: ; @_ZN7rocprim17ROCPRIM_400000_NS6detail17trampoline_kernelINS0_14default_configENS1_22reduce_config_selectorIiEEZNS1_11reduce_implILb1ES3_N6thrust23THRUST_200600_302600_NS11hip_rocprim35transform_pair_of_input_iterators_tIiNS8_6detail15normal_iteratorINS8_10device_ptrIKcEEEESG_13is_word_startEEPiiNS8_4plusIiEEEE10hipError_tPvRmT1_T2_T3_mT4_P12ihipStream_tbEUlT_E1_NS1_11comp_targetILNS1_3genE2ELNS1_11target_archE906ELNS1_3gpuE6ELNS1_3repE0EEENS1_30default_config_static_selectorELNS0_4arch9wavefront6targetE1EEEvSP_
; %bb.0:
	.section	.rodata,"a",@progbits
	.p2align	6, 0x0
	.amdhsa_kernel _ZN7rocprim17ROCPRIM_400000_NS6detail17trampoline_kernelINS0_14default_configENS1_22reduce_config_selectorIiEEZNS1_11reduce_implILb1ES3_N6thrust23THRUST_200600_302600_NS11hip_rocprim35transform_pair_of_input_iterators_tIiNS8_6detail15normal_iteratorINS8_10device_ptrIKcEEEESG_13is_word_startEEPiiNS8_4plusIiEEEE10hipError_tPvRmT1_T2_T3_mT4_P12ihipStream_tbEUlT_E1_NS1_11comp_targetILNS1_3genE2ELNS1_11target_archE906ELNS1_3gpuE6ELNS1_3repE0EEENS1_30default_config_static_selectorELNS0_4arch9wavefront6targetE1EEEvSP_
		.amdhsa_group_segment_fixed_size 0
		.amdhsa_private_segment_fixed_size 0
		.amdhsa_kernarg_size 56
		.amdhsa_user_sgpr_count 6
		.amdhsa_user_sgpr_private_segment_buffer 1
		.amdhsa_user_sgpr_dispatch_ptr 0
		.amdhsa_user_sgpr_queue_ptr 0
		.amdhsa_user_sgpr_kernarg_segment_ptr 1
		.amdhsa_user_sgpr_dispatch_id 0
		.amdhsa_user_sgpr_flat_scratch_init 0
		.amdhsa_user_sgpr_kernarg_preload_length 0
		.amdhsa_user_sgpr_kernarg_preload_offset 0
		.amdhsa_user_sgpr_private_segment_size 0
		.amdhsa_uses_dynamic_stack 0
		.amdhsa_system_sgpr_private_segment_wavefront_offset 0
		.amdhsa_system_sgpr_workgroup_id_x 1
		.amdhsa_system_sgpr_workgroup_id_y 0
		.amdhsa_system_sgpr_workgroup_id_z 0
		.amdhsa_system_sgpr_workgroup_info 0
		.amdhsa_system_vgpr_workitem_id 0
		.amdhsa_next_free_vgpr 1
		.amdhsa_next_free_sgpr 0
		.amdhsa_accum_offset 4
		.amdhsa_reserve_vcc 0
		.amdhsa_reserve_flat_scratch 0
		.amdhsa_float_round_mode_32 0
		.amdhsa_float_round_mode_16_64 0
		.amdhsa_float_denorm_mode_32 3
		.amdhsa_float_denorm_mode_16_64 3
		.amdhsa_dx10_clamp 1
		.amdhsa_ieee_mode 1
		.amdhsa_fp16_overflow 0
		.amdhsa_tg_split 0
		.amdhsa_exception_fp_ieee_invalid_op 0
		.amdhsa_exception_fp_denorm_src 0
		.amdhsa_exception_fp_ieee_div_zero 0
		.amdhsa_exception_fp_ieee_overflow 0
		.amdhsa_exception_fp_ieee_underflow 0
		.amdhsa_exception_fp_ieee_inexact 0
		.amdhsa_exception_int_div_zero 0
	.end_amdhsa_kernel
	.section	.text._ZN7rocprim17ROCPRIM_400000_NS6detail17trampoline_kernelINS0_14default_configENS1_22reduce_config_selectorIiEEZNS1_11reduce_implILb1ES3_N6thrust23THRUST_200600_302600_NS11hip_rocprim35transform_pair_of_input_iterators_tIiNS8_6detail15normal_iteratorINS8_10device_ptrIKcEEEESG_13is_word_startEEPiiNS8_4plusIiEEEE10hipError_tPvRmT1_T2_T3_mT4_P12ihipStream_tbEUlT_E1_NS1_11comp_targetILNS1_3genE2ELNS1_11target_archE906ELNS1_3gpuE6ELNS1_3repE0EEENS1_30default_config_static_selectorELNS0_4arch9wavefront6targetE1EEEvSP_,"axG",@progbits,_ZN7rocprim17ROCPRIM_400000_NS6detail17trampoline_kernelINS0_14default_configENS1_22reduce_config_selectorIiEEZNS1_11reduce_implILb1ES3_N6thrust23THRUST_200600_302600_NS11hip_rocprim35transform_pair_of_input_iterators_tIiNS8_6detail15normal_iteratorINS8_10device_ptrIKcEEEESG_13is_word_startEEPiiNS8_4plusIiEEEE10hipError_tPvRmT1_T2_T3_mT4_P12ihipStream_tbEUlT_E1_NS1_11comp_targetILNS1_3genE2ELNS1_11target_archE906ELNS1_3gpuE6ELNS1_3repE0EEENS1_30default_config_static_selectorELNS0_4arch9wavefront6targetE1EEEvSP_,comdat
.Lfunc_end31:
	.size	_ZN7rocprim17ROCPRIM_400000_NS6detail17trampoline_kernelINS0_14default_configENS1_22reduce_config_selectorIiEEZNS1_11reduce_implILb1ES3_N6thrust23THRUST_200600_302600_NS11hip_rocprim35transform_pair_of_input_iterators_tIiNS8_6detail15normal_iteratorINS8_10device_ptrIKcEEEESG_13is_word_startEEPiiNS8_4plusIiEEEE10hipError_tPvRmT1_T2_T3_mT4_P12ihipStream_tbEUlT_E1_NS1_11comp_targetILNS1_3genE2ELNS1_11target_archE906ELNS1_3gpuE6ELNS1_3repE0EEENS1_30default_config_static_selectorELNS0_4arch9wavefront6targetE1EEEvSP_, .Lfunc_end31-_ZN7rocprim17ROCPRIM_400000_NS6detail17trampoline_kernelINS0_14default_configENS1_22reduce_config_selectorIiEEZNS1_11reduce_implILb1ES3_N6thrust23THRUST_200600_302600_NS11hip_rocprim35transform_pair_of_input_iterators_tIiNS8_6detail15normal_iteratorINS8_10device_ptrIKcEEEESG_13is_word_startEEPiiNS8_4plusIiEEEE10hipError_tPvRmT1_T2_T3_mT4_P12ihipStream_tbEUlT_E1_NS1_11comp_targetILNS1_3genE2ELNS1_11target_archE906ELNS1_3gpuE6ELNS1_3repE0EEENS1_30default_config_static_selectorELNS0_4arch9wavefront6targetE1EEEvSP_
                                        ; -- End function
	.section	.AMDGPU.csdata,"",@progbits
; Kernel info:
; codeLenInByte = 0
; NumSgprs: 4
; NumVgprs: 0
; NumAgprs: 0
; TotalNumVgprs: 0
; ScratchSize: 0
; MemoryBound: 0
; FloatMode: 240
; IeeeMode: 1
; LDSByteSize: 0 bytes/workgroup (compile time only)
; SGPRBlocks: 0
; VGPRBlocks: 0
; NumSGPRsForWavesPerEU: 4
; NumVGPRsForWavesPerEU: 1
; AccumOffset: 4
; Occupancy: 8
; WaveLimiterHint : 0
; COMPUTE_PGM_RSRC2:SCRATCH_EN: 0
; COMPUTE_PGM_RSRC2:USER_SGPR: 6
; COMPUTE_PGM_RSRC2:TRAP_HANDLER: 0
; COMPUTE_PGM_RSRC2:TGID_X_EN: 1
; COMPUTE_PGM_RSRC2:TGID_Y_EN: 0
; COMPUTE_PGM_RSRC2:TGID_Z_EN: 0
; COMPUTE_PGM_RSRC2:TIDIG_COMP_CNT: 0
; COMPUTE_PGM_RSRC3_GFX90A:ACCUM_OFFSET: 0
; COMPUTE_PGM_RSRC3_GFX90A:TG_SPLIT: 0
	.section	.text._ZN7rocprim17ROCPRIM_400000_NS6detail17trampoline_kernelINS0_14default_configENS1_22reduce_config_selectorIiEEZNS1_11reduce_implILb1ES3_N6thrust23THRUST_200600_302600_NS11hip_rocprim35transform_pair_of_input_iterators_tIiNS8_6detail15normal_iteratorINS8_10device_ptrIKcEEEESG_13is_word_startEEPiiNS8_4plusIiEEEE10hipError_tPvRmT1_T2_T3_mT4_P12ihipStream_tbEUlT_E1_NS1_11comp_targetILNS1_3genE10ELNS1_11target_archE1201ELNS1_3gpuE5ELNS1_3repE0EEENS1_30default_config_static_selectorELNS0_4arch9wavefront6targetE1EEEvSP_,"axG",@progbits,_ZN7rocprim17ROCPRIM_400000_NS6detail17trampoline_kernelINS0_14default_configENS1_22reduce_config_selectorIiEEZNS1_11reduce_implILb1ES3_N6thrust23THRUST_200600_302600_NS11hip_rocprim35transform_pair_of_input_iterators_tIiNS8_6detail15normal_iteratorINS8_10device_ptrIKcEEEESG_13is_word_startEEPiiNS8_4plusIiEEEE10hipError_tPvRmT1_T2_T3_mT4_P12ihipStream_tbEUlT_E1_NS1_11comp_targetILNS1_3genE10ELNS1_11target_archE1201ELNS1_3gpuE5ELNS1_3repE0EEENS1_30default_config_static_selectorELNS0_4arch9wavefront6targetE1EEEvSP_,comdat
	.protected	_ZN7rocprim17ROCPRIM_400000_NS6detail17trampoline_kernelINS0_14default_configENS1_22reduce_config_selectorIiEEZNS1_11reduce_implILb1ES3_N6thrust23THRUST_200600_302600_NS11hip_rocprim35transform_pair_of_input_iterators_tIiNS8_6detail15normal_iteratorINS8_10device_ptrIKcEEEESG_13is_word_startEEPiiNS8_4plusIiEEEE10hipError_tPvRmT1_T2_T3_mT4_P12ihipStream_tbEUlT_E1_NS1_11comp_targetILNS1_3genE10ELNS1_11target_archE1201ELNS1_3gpuE5ELNS1_3repE0EEENS1_30default_config_static_selectorELNS0_4arch9wavefront6targetE1EEEvSP_ ; -- Begin function _ZN7rocprim17ROCPRIM_400000_NS6detail17trampoline_kernelINS0_14default_configENS1_22reduce_config_selectorIiEEZNS1_11reduce_implILb1ES3_N6thrust23THRUST_200600_302600_NS11hip_rocprim35transform_pair_of_input_iterators_tIiNS8_6detail15normal_iteratorINS8_10device_ptrIKcEEEESG_13is_word_startEEPiiNS8_4plusIiEEEE10hipError_tPvRmT1_T2_T3_mT4_P12ihipStream_tbEUlT_E1_NS1_11comp_targetILNS1_3genE10ELNS1_11target_archE1201ELNS1_3gpuE5ELNS1_3repE0EEENS1_30default_config_static_selectorELNS0_4arch9wavefront6targetE1EEEvSP_
	.globl	_ZN7rocprim17ROCPRIM_400000_NS6detail17trampoline_kernelINS0_14default_configENS1_22reduce_config_selectorIiEEZNS1_11reduce_implILb1ES3_N6thrust23THRUST_200600_302600_NS11hip_rocprim35transform_pair_of_input_iterators_tIiNS8_6detail15normal_iteratorINS8_10device_ptrIKcEEEESG_13is_word_startEEPiiNS8_4plusIiEEEE10hipError_tPvRmT1_T2_T3_mT4_P12ihipStream_tbEUlT_E1_NS1_11comp_targetILNS1_3genE10ELNS1_11target_archE1201ELNS1_3gpuE5ELNS1_3repE0EEENS1_30default_config_static_selectorELNS0_4arch9wavefront6targetE1EEEvSP_
	.p2align	8
	.type	_ZN7rocprim17ROCPRIM_400000_NS6detail17trampoline_kernelINS0_14default_configENS1_22reduce_config_selectorIiEEZNS1_11reduce_implILb1ES3_N6thrust23THRUST_200600_302600_NS11hip_rocprim35transform_pair_of_input_iterators_tIiNS8_6detail15normal_iteratorINS8_10device_ptrIKcEEEESG_13is_word_startEEPiiNS8_4plusIiEEEE10hipError_tPvRmT1_T2_T3_mT4_P12ihipStream_tbEUlT_E1_NS1_11comp_targetILNS1_3genE10ELNS1_11target_archE1201ELNS1_3gpuE5ELNS1_3repE0EEENS1_30default_config_static_selectorELNS0_4arch9wavefront6targetE1EEEvSP_,@function
_ZN7rocprim17ROCPRIM_400000_NS6detail17trampoline_kernelINS0_14default_configENS1_22reduce_config_selectorIiEEZNS1_11reduce_implILb1ES3_N6thrust23THRUST_200600_302600_NS11hip_rocprim35transform_pair_of_input_iterators_tIiNS8_6detail15normal_iteratorINS8_10device_ptrIKcEEEESG_13is_word_startEEPiiNS8_4plusIiEEEE10hipError_tPvRmT1_T2_T3_mT4_P12ihipStream_tbEUlT_E1_NS1_11comp_targetILNS1_3genE10ELNS1_11target_archE1201ELNS1_3gpuE5ELNS1_3repE0EEENS1_30default_config_static_selectorELNS0_4arch9wavefront6targetE1EEEvSP_: ; @_ZN7rocprim17ROCPRIM_400000_NS6detail17trampoline_kernelINS0_14default_configENS1_22reduce_config_selectorIiEEZNS1_11reduce_implILb1ES3_N6thrust23THRUST_200600_302600_NS11hip_rocprim35transform_pair_of_input_iterators_tIiNS8_6detail15normal_iteratorINS8_10device_ptrIKcEEEESG_13is_word_startEEPiiNS8_4plusIiEEEE10hipError_tPvRmT1_T2_T3_mT4_P12ihipStream_tbEUlT_E1_NS1_11comp_targetILNS1_3genE10ELNS1_11target_archE1201ELNS1_3gpuE5ELNS1_3repE0EEENS1_30default_config_static_selectorELNS0_4arch9wavefront6targetE1EEEvSP_
; %bb.0:
	.section	.rodata,"a",@progbits
	.p2align	6, 0x0
	.amdhsa_kernel _ZN7rocprim17ROCPRIM_400000_NS6detail17trampoline_kernelINS0_14default_configENS1_22reduce_config_selectorIiEEZNS1_11reduce_implILb1ES3_N6thrust23THRUST_200600_302600_NS11hip_rocprim35transform_pair_of_input_iterators_tIiNS8_6detail15normal_iteratorINS8_10device_ptrIKcEEEESG_13is_word_startEEPiiNS8_4plusIiEEEE10hipError_tPvRmT1_T2_T3_mT4_P12ihipStream_tbEUlT_E1_NS1_11comp_targetILNS1_3genE10ELNS1_11target_archE1201ELNS1_3gpuE5ELNS1_3repE0EEENS1_30default_config_static_selectorELNS0_4arch9wavefront6targetE1EEEvSP_
		.amdhsa_group_segment_fixed_size 0
		.amdhsa_private_segment_fixed_size 0
		.amdhsa_kernarg_size 56
		.amdhsa_user_sgpr_count 6
		.amdhsa_user_sgpr_private_segment_buffer 1
		.amdhsa_user_sgpr_dispatch_ptr 0
		.amdhsa_user_sgpr_queue_ptr 0
		.amdhsa_user_sgpr_kernarg_segment_ptr 1
		.amdhsa_user_sgpr_dispatch_id 0
		.amdhsa_user_sgpr_flat_scratch_init 0
		.amdhsa_user_sgpr_kernarg_preload_length 0
		.amdhsa_user_sgpr_kernarg_preload_offset 0
		.amdhsa_user_sgpr_private_segment_size 0
		.amdhsa_uses_dynamic_stack 0
		.amdhsa_system_sgpr_private_segment_wavefront_offset 0
		.amdhsa_system_sgpr_workgroup_id_x 1
		.amdhsa_system_sgpr_workgroup_id_y 0
		.amdhsa_system_sgpr_workgroup_id_z 0
		.amdhsa_system_sgpr_workgroup_info 0
		.amdhsa_system_vgpr_workitem_id 0
		.amdhsa_next_free_vgpr 1
		.amdhsa_next_free_sgpr 0
		.amdhsa_accum_offset 4
		.amdhsa_reserve_vcc 0
		.amdhsa_reserve_flat_scratch 0
		.amdhsa_float_round_mode_32 0
		.amdhsa_float_round_mode_16_64 0
		.amdhsa_float_denorm_mode_32 3
		.amdhsa_float_denorm_mode_16_64 3
		.amdhsa_dx10_clamp 1
		.amdhsa_ieee_mode 1
		.amdhsa_fp16_overflow 0
		.amdhsa_tg_split 0
		.amdhsa_exception_fp_ieee_invalid_op 0
		.amdhsa_exception_fp_denorm_src 0
		.amdhsa_exception_fp_ieee_div_zero 0
		.amdhsa_exception_fp_ieee_overflow 0
		.amdhsa_exception_fp_ieee_underflow 0
		.amdhsa_exception_fp_ieee_inexact 0
		.amdhsa_exception_int_div_zero 0
	.end_amdhsa_kernel
	.section	.text._ZN7rocprim17ROCPRIM_400000_NS6detail17trampoline_kernelINS0_14default_configENS1_22reduce_config_selectorIiEEZNS1_11reduce_implILb1ES3_N6thrust23THRUST_200600_302600_NS11hip_rocprim35transform_pair_of_input_iterators_tIiNS8_6detail15normal_iteratorINS8_10device_ptrIKcEEEESG_13is_word_startEEPiiNS8_4plusIiEEEE10hipError_tPvRmT1_T2_T3_mT4_P12ihipStream_tbEUlT_E1_NS1_11comp_targetILNS1_3genE10ELNS1_11target_archE1201ELNS1_3gpuE5ELNS1_3repE0EEENS1_30default_config_static_selectorELNS0_4arch9wavefront6targetE1EEEvSP_,"axG",@progbits,_ZN7rocprim17ROCPRIM_400000_NS6detail17trampoline_kernelINS0_14default_configENS1_22reduce_config_selectorIiEEZNS1_11reduce_implILb1ES3_N6thrust23THRUST_200600_302600_NS11hip_rocprim35transform_pair_of_input_iterators_tIiNS8_6detail15normal_iteratorINS8_10device_ptrIKcEEEESG_13is_word_startEEPiiNS8_4plusIiEEEE10hipError_tPvRmT1_T2_T3_mT4_P12ihipStream_tbEUlT_E1_NS1_11comp_targetILNS1_3genE10ELNS1_11target_archE1201ELNS1_3gpuE5ELNS1_3repE0EEENS1_30default_config_static_selectorELNS0_4arch9wavefront6targetE1EEEvSP_,comdat
.Lfunc_end32:
	.size	_ZN7rocprim17ROCPRIM_400000_NS6detail17trampoline_kernelINS0_14default_configENS1_22reduce_config_selectorIiEEZNS1_11reduce_implILb1ES3_N6thrust23THRUST_200600_302600_NS11hip_rocprim35transform_pair_of_input_iterators_tIiNS8_6detail15normal_iteratorINS8_10device_ptrIKcEEEESG_13is_word_startEEPiiNS8_4plusIiEEEE10hipError_tPvRmT1_T2_T3_mT4_P12ihipStream_tbEUlT_E1_NS1_11comp_targetILNS1_3genE10ELNS1_11target_archE1201ELNS1_3gpuE5ELNS1_3repE0EEENS1_30default_config_static_selectorELNS0_4arch9wavefront6targetE1EEEvSP_, .Lfunc_end32-_ZN7rocprim17ROCPRIM_400000_NS6detail17trampoline_kernelINS0_14default_configENS1_22reduce_config_selectorIiEEZNS1_11reduce_implILb1ES3_N6thrust23THRUST_200600_302600_NS11hip_rocprim35transform_pair_of_input_iterators_tIiNS8_6detail15normal_iteratorINS8_10device_ptrIKcEEEESG_13is_word_startEEPiiNS8_4plusIiEEEE10hipError_tPvRmT1_T2_T3_mT4_P12ihipStream_tbEUlT_E1_NS1_11comp_targetILNS1_3genE10ELNS1_11target_archE1201ELNS1_3gpuE5ELNS1_3repE0EEENS1_30default_config_static_selectorELNS0_4arch9wavefront6targetE1EEEvSP_
                                        ; -- End function
	.section	.AMDGPU.csdata,"",@progbits
; Kernel info:
; codeLenInByte = 0
; NumSgprs: 4
; NumVgprs: 0
; NumAgprs: 0
; TotalNumVgprs: 0
; ScratchSize: 0
; MemoryBound: 0
; FloatMode: 240
; IeeeMode: 1
; LDSByteSize: 0 bytes/workgroup (compile time only)
; SGPRBlocks: 0
; VGPRBlocks: 0
; NumSGPRsForWavesPerEU: 4
; NumVGPRsForWavesPerEU: 1
; AccumOffset: 4
; Occupancy: 8
; WaveLimiterHint : 0
; COMPUTE_PGM_RSRC2:SCRATCH_EN: 0
; COMPUTE_PGM_RSRC2:USER_SGPR: 6
; COMPUTE_PGM_RSRC2:TRAP_HANDLER: 0
; COMPUTE_PGM_RSRC2:TGID_X_EN: 1
; COMPUTE_PGM_RSRC2:TGID_Y_EN: 0
; COMPUTE_PGM_RSRC2:TGID_Z_EN: 0
; COMPUTE_PGM_RSRC2:TIDIG_COMP_CNT: 0
; COMPUTE_PGM_RSRC3_GFX90A:ACCUM_OFFSET: 0
; COMPUTE_PGM_RSRC3_GFX90A:TG_SPLIT: 0
	.section	.text._ZN7rocprim17ROCPRIM_400000_NS6detail17trampoline_kernelINS0_14default_configENS1_22reduce_config_selectorIiEEZNS1_11reduce_implILb1ES3_N6thrust23THRUST_200600_302600_NS11hip_rocprim35transform_pair_of_input_iterators_tIiNS8_6detail15normal_iteratorINS8_10device_ptrIKcEEEESG_13is_word_startEEPiiNS8_4plusIiEEEE10hipError_tPvRmT1_T2_T3_mT4_P12ihipStream_tbEUlT_E1_NS1_11comp_targetILNS1_3genE10ELNS1_11target_archE1200ELNS1_3gpuE4ELNS1_3repE0EEENS1_30default_config_static_selectorELNS0_4arch9wavefront6targetE1EEEvSP_,"axG",@progbits,_ZN7rocprim17ROCPRIM_400000_NS6detail17trampoline_kernelINS0_14default_configENS1_22reduce_config_selectorIiEEZNS1_11reduce_implILb1ES3_N6thrust23THRUST_200600_302600_NS11hip_rocprim35transform_pair_of_input_iterators_tIiNS8_6detail15normal_iteratorINS8_10device_ptrIKcEEEESG_13is_word_startEEPiiNS8_4plusIiEEEE10hipError_tPvRmT1_T2_T3_mT4_P12ihipStream_tbEUlT_E1_NS1_11comp_targetILNS1_3genE10ELNS1_11target_archE1200ELNS1_3gpuE4ELNS1_3repE0EEENS1_30default_config_static_selectorELNS0_4arch9wavefront6targetE1EEEvSP_,comdat
	.protected	_ZN7rocprim17ROCPRIM_400000_NS6detail17trampoline_kernelINS0_14default_configENS1_22reduce_config_selectorIiEEZNS1_11reduce_implILb1ES3_N6thrust23THRUST_200600_302600_NS11hip_rocprim35transform_pair_of_input_iterators_tIiNS8_6detail15normal_iteratorINS8_10device_ptrIKcEEEESG_13is_word_startEEPiiNS8_4plusIiEEEE10hipError_tPvRmT1_T2_T3_mT4_P12ihipStream_tbEUlT_E1_NS1_11comp_targetILNS1_3genE10ELNS1_11target_archE1200ELNS1_3gpuE4ELNS1_3repE0EEENS1_30default_config_static_selectorELNS0_4arch9wavefront6targetE1EEEvSP_ ; -- Begin function _ZN7rocprim17ROCPRIM_400000_NS6detail17trampoline_kernelINS0_14default_configENS1_22reduce_config_selectorIiEEZNS1_11reduce_implILb1ES3_N6thrust23THRUST_200600_302600_NS11hip_rocprim35transform_pair_of_input_iterators_tIiNS8_6detail15normal_iteratorINS8_10device_ptrIKcEEEESG_13is_word_startEEPiiNS8_4plusIiEEEE10hipError_tPvRmT1_T2_T3_mT4_P12ihipStream_tbEUlT_E1_NS1_11comp_targetILNS1_3genE10ELNS1_11target_archE1200ELNS1_3gpuE4ELNS1_3repE0EEENS1_30default_config_static_selectorELNS0_4arch9wavefront6targetE1EEEvSP_
	.globl	_ZN7rocprim17ROCPRIM_400000_NS6detail17trampoline_kernelINS0_14default_configENS1_22reduce_config_selectorIiEEZNS1_11reduce_implILb1ES3_N6thrust23THRUST_200600_302600_NS11hip_rocprim35transform_pair_of_input_iterators_tIiNS8_6detail15normal_iteratorINS8_10device_ptrIKcEEEESG_13is_word_startEEPiiNS8_4plusIiEEEE10hipError_tPvRmT1_T2_T3_mT4_P12ihipStream_tbEUlT_E1_NS1_11comp_targetILNS1_3genE10ELNS1_11target_archE1200ELNS1_3gpuE4ELNS1_3repE0EEENS1_30default_config_static_selectorELNS0_4arch9wavefront6targetE1EEEvSP_
	.p2align	8
	.type	_ZN7rocprim17ROCPRIM_400000_NS6detail17trampoline_kernelINS0_14default_configENS1_22reduce_config_selectorIiEEZNS1_11reduce_implILb1ES3_N6thrust23THRUST_200600_302600_NS11hip_rocprim35transform_pair_of_input_iterators_tIiNS8_6detail15normal_iteratorINS8_10device_ptrIKcEEEESG_13is_word_startEEPiiNS8_4plusIiEEEE10hipError_tPvRmT1_T2_T3_mT4_P12ihipStream_tbEUlT_E1_NS1_11comp_targetILNS1_3genE10ELNS1_11target_archE1200ELNS1_3gpuE4ELNS1_3repE0EEENS1_30default_config_static_selectorELNS0_4arch9wavefront6targetE1EEEvSP_,@function
_ZN7rocprim17ROCPRIM_400000_NS6detail17trampoline_kernelINS0_14default_configENS1_22reduce_config_selectorIiEEZNS1_11reduce_implILb1ES3_N6thrust23THRUST_200600_302600_NS11hip_rocprim35transform_pair_of_input_iterators_tIiNS8_6detail15normal_iteratorINS8_10device_ptrIKcEEEESG_13is_word_startEEPiiNS8_4plusIiEEEE10hipError_tPvRmT1_T2_T3_mT4_P12ihipStream_tbEUlT_E1_NS1_11comp_targetILNS1_3genE10ELNS1_11target_archE1200ELNS1_3gpuE4ELNS1_3repE0EEENS1_30default_config_static_selectorELNS0_4arch9wavefront6targetE1EEEvSP_: ; @_ZN7rocprim17ROCPRIM_400000_NS6detail17trampoline_kernelINS0_14default_configENS1_22reduce_config_selectorIiEEZNS1_11reduce_implILb1ES3_N6thrust23THRUST_200600_302600_NS11hip_rocprim35transform_pair_of_input_iterators_tIiNS8_6detail15normal_iteratorINS8_10device_ptrIKcEEEESG_13is_word_startEEPiiNS8_4plusIiEEEE10hipError_tPvRmT1_T2_T3_mT4_P12ihipStream_tbEUlT_E1_NS1_11comp_targetILNS1_3genE10ELNS1_11target_archE1200ELNS1_3gpuE4ELNS1_3repE0EEENS1_30default_config_static_selectorELNS0_4arch9wavefront6targetE1EEEvSP_
; %bb.0:
	.section	.rodata,"a",@progbits
	.p2align	6, 0x0
	.amdhsa_kernel _ZN7rocprim17ROCPRIM_400000_NS6detail17trampoline_kernelINS0_14default_configENS1_22reduce_config_selectorIiEEZNS1_11reduce_implILb1ES3_N6thrust23THRUST_200600_302600_NS11hip_rocprim35transform_pair_of_input_iterators_tIiNS8_6detail15normal_iteratorINS8_10device_ptrIKcEEEESG_13is_word_startEEPiiNS8_4plusIiEEEE10hipError_tPvRmT1_T2_T3_mT4_P12ihipStream_tbEUlT_E1_NS1_11comp_targetILNS1_3genE10ELNS1_11target_archE1200ELNS1_3gpuE4ELNS1_3repE0EEENS1_30default_config_static_selectorELNS0_4arch9wavefront6targetE1EEEvSP_
		.amdhsa_group_segment_fixed_size 0
		.amdhsa_private_segment_fixed_size 0
		.amdhsa_kernarg_size 56
		.amdhsa_user_sgpr_count 6
		.amdhsa_user_sgpr_private_segment_buffer 1
		.amdhsa_user_sgpr_dispatch_ptr 0
		.amdhsa_user_sgpr_queue_ptr 0
		.amdhsa_user_sgpr_kernarg_segment_ptr 1
		.amdhsa_user_sgpr_dispatch_id 0
		.amdhsa_user_sgpr_flat_scratch_init 0
		.amdhsa_user_sgpr_kernarg_preload_length 0
		.amdhsa_user_sgpr_kernarg_preload_offset 0
		.amdhsa_user_sgpr_private_segment_size 0
		.amdhsa_uses_dynamic_stack 0
		.amdhsa_system_sgpr_private_segment_wavefront_offset 0
		.amdhsa_system_sgpr_workgroup_id_x 1
		.amdhsa_system_sgpr_workgroup_id_y 0
		.amdhsa_system_sgpr_workgroup_id_z 0
		.amdhsa_system_sgpr_workgroup_info 0
		.amdhsa_system_vgpr_workitem_id 0
		.amdhsa_next_free_vgpr 1
		.amdhsa_next_free_sgpr 0
		.amdhsa_accum_offset 4
		.amdhsa_reserve_vcc 0
		.amdhsa_reserve_flat_scratch 0
		.amdhsa_float_round_mode_32 0
		.amdhsa_float_round_mode_16_64 0
		.amdhsa_float_denorm_mode_32 3
		.amdhsa_float_denorm_mode_16_64 3
		.amdhsa_dx10_clamp 1
		.amdhsa_ieee_mode 1
		.amdhsa_fp16_overflow 0
		.amdhsa_tg_split 0
		.amdhsa_exception_fp_ieee_invalid_op 0
		.amdhsa_exception_fp_denorm_src 0
		.amdhsa_exception_fp_ieee_div_zero 0
		.amdhsa_exception_fp_ieee_overflow 0
		.amdhsa_exception_fp_ieee_underflow 0
		.amdhsa_exception_fp_ieee_inexact 0
		.amdhsa_exception_int_div_zero 0
	.end_amdhsa_kernel
	.section	.text._ZN7rocprim17ROCPRIM_400000_NS6detail17trampoline_kernelINS0_14default_configENS1_22reduce_config_selectorIiEEZNS1_11reduce_implILb1ES3_N6thrust23THRUST_200600_302600_NS11hip_rocprim35transform_pair_of_input_iterators_tIiNS8_6detail15normal_iteratorINS8_10device_ptrIKcEEEESG_13is_word_startEEPiiNS8_4plusIiEEEE10hipError_tPvRmT1_T2_T3_mT4_P12ihipStream_tbEUlT_E1_NS1_11comp_targetILNS1_3genE10ELNS1_11target_archE1200ELNS1_3gpuE4ELNS1_3repE0EEENS1_30default_config_static_selectorELNS0_4arch9wavefront6targetE1EEEvSP_,"axG",@progbits,_ZN7rocprim17ROCPRIM_400000_NS6detail17trampoline_kernelINS0_14default_configENS1_22reduce_config_selectorIiEEZNS1_11reduce_implILb1ES3_N6thrust23THRUST_200600_302600_NS11hip_rocprim35transform_pair_of_input_iterators_tIiNS8_6detail15normal_iteratorINS8_10device_ptrIKcEEEESG_13is_word_startEEPiiNS8_4plusIiEEEE10hipError_tPvRmT1_T2_T3_mT4_P12ihipStream_tbEUlT_E1_NS1_11comp_targetILNS1_3genE10ELNS1_11target_archE1200ELNS1_3gpuE4ELNS1_3repE0EEENS1_30default_config_static_selectorELNS0_4arch9wavefront6targetE1EEEvSP_,comdat
.Lfunc_end33:
	.size	_ZN7rocprim17ROCPRIM_400000_NS6detail17trampoline_kernelINS0_14default_configENS1_22reduce_config_selectorIiEEZNS1_11reduce_implILb1ES3_N6thrust23THRUST_200600_302600_NS11hip_rocprim35transform_pair_of_input_iterators_tIiNS8_6detail15normal_iteratorINS8_10device_ptrIKcEEEESG_13is_word_startEEPiiNS8_4plusIiEEEE10hipError_tPvRmT1_T2_T3_mT4_P12ihipStream_tbEUlT_E1_NS1_11comp_targetILNS1_3genE10ELNS1_11target_archE1200ELNS1_3gpuE4ELNS1_3repE0EEENS1_30default_config_static_selectorELNS0_4arch9wavefront6targetE1EEEvSP_, .Lfunc_end33-_ZN7rocprim17ROCPRIM_400000_NS6detail17trampoline_kernelINS0_14default_configENS1_22reduce_config_selectorIiEEZNS1_11reduce_implILb1ES3_N6thrust23THRUST_200600_302600_NS11hip_rocprim35transform_pair_of_input_iterators_tIiNS8_6detail15normal_iteratorINS8_10device_ptrIKcEEEESG_13is_word_startEEPiiNS8_4plusIiEEEE10hipError_tPvRmT1_T2_T3_mT4_P12ihipStream_tbEUlT_E1_NS1_11comp_targetILNS1_3genE10ELNS1_11target_archE1200ELNS1_3gpuE4ELNS1_3repE0EEENS1_30default_config_static_selectorELNS0_4arch9wavefront6targetE1EEEvSP_
                                        ; -- End function
	.section	.AMDGPU.csdata,"",@progbits
; Kernel info:
; codeLenInByte = 0
; NumSgprs: 4
; NumVgprs: 0
; NumAgprs: 0
; TotalNumVgprs: 0
; ScratchSize: 0
; MemoryBound: 0
; FloatMode: 240
; IeeeMode: 1
; LDSByteSize: 0 bytes/workgroup (compile time only)
; SGPRBlocks: 0
; VGPRBlocks: 0
; NumSGPRsForWavesPerEU: 4
; NumVGPRsForWavesPerEU: 1
; AccumOffset: 4
; Occupancy: 8
; WaveLimiterHint : 0
; COMPUTE_PGM_RSRC2:SCRATCH_EN: 0
; COMPUTE_PGM_RSRC2:USER_SGPR: 6
; COMPUTE_PGM_RSRC2:TRAP_HANDLER: 0
; COMPUTE_PGM_RSRC2:TGID_X_EN: 1
; COMPUTE_PGM_RSRC2:TGID_Y_EN: 0
; COMPUTE_PGM_RSRC2:TGID_Z_EN: 0
; COMPUTE_PGM_RSRC2:TIDIG_COMP_CNT: 0
; COMPUTE_PGM_RSRC3_GFX90A:ACCUM_OFFSET: 0
; COMPUTE_PGM_RSRC3_GFX90A:TG_SPLIT: 0
	.section	.text._ZN7rocprim17ROCPRIM_400000_NS6detail17trampoline_kernelINS0_14default_configENS1_22reduce_config_selectorIiEEZNS1_11reduce_implILb1ES3_N6thrust23THRUST_200600_302600_NS11hip_rocprim35transform_pair_of_input_iterators_tIiNS8_6detail15normal_iteratorINS8_10device_ptrIKcEEEESG_13is_word_startEEPiiNS8_4plusIiEEEE10hipError_tPvRmT1_T2_T3_mT4_P12ihipStream_tbEUlT_E1_NS1_11comp_targetILNS1_3genE9ELNS1_11target_archE1100ELNS1_3gpuE3ELNS1_3repE0EEENS1_30default_config_static_selectorELNS0_4arch9wavefront6targetE1EEEvSP_,"axG",@progbits,_ZN7rocprim17ROCPRIM_400000_NS6detail17trampoline_kernelINS0_14default_configENS1_22reduce_config_selectorIiEEZNS1_11reduce_implILb1ES3_N6thrust23THRUST_200600_302600_NS11hip_rocprim35transform_pair_of_input_iterators_tIiNS8_6detail15normal_iteratorINS8_10device_ptrIKcEEEESG_13is_word_startEEPiiNS8_4plusIiEEEE10hipError_tPvRmT1_T2_T3_mT4_P12ihipStream_tbEUlT_E1_NS1_11comp_targetILNS1_3genE9ELNS1_11target_archE1100ELNS1_3gpuE3ELNS1_3repE0EEENS1_30default_config_static_selectorELNS0_4arch9wavefront6targetE1EEEvSP_,comdat
	.protected	_ZN7rocprim17ROCPRIM_400000_NS6detail17trampoline_kernelINS0_14default_configENS1_22reduce_config_selectorIiEEZNS1_11reduce_implILb1ES3_N6thrust23THRUST_200600_302600_NS11hip_rocprim35transform_pair_of_input_iterators_tIiNS8_6detail15normal_iteratorINS8_10device_ptrIKcEEEESG_13is_word_startEEPiiNS8_4plusIiEEEE10hipError_tPvRmT1_T2_T3_mT4_P12ihipStream_tbEUlT_E1_NS1_11comp_targetILNS1_3genE9ELNS1_11target_archE1100ELNS1_3gpuE3ELNS1_3repE0EEENS1_30default_config_static_selectorELNS0_4arch9wavefront6targetE1EEEvSP_ ; -- Begin function _ZN7rocprim17ROCPRIM_400000_NS6detail17trampoline_kernelINS0_14default_configENS1_22reduce_config_selectorIiEEZNS1_11reduce_implILb1ES3_N6thrust23THRUST_200600_302600_NS11hip_rocprim35transform_pair_of_input_iterators_tIiNS8_6detail15normal_iteratorINS8_10device_ptrIKcEEEESG_13is_word_startEEPiiNS8_4plusIiEEEE10hipError_tPvRmT1_T2_T3_mT4_P12ihipStream_tbEUlT_E1_NS1_11comp_targetILNS1_3genE9ELNS1_11target_archE1100ELNS1_3gpuE3ELNS1_3repE0EEENS1_30default_config_static_selectorELNS0_4arch9wavefront6targetE1EEEvSP_
	.globl	_ZN7rocprim17ROCPRIM_400000_NS6detail17trampoline_kernelINS0_14default_configENS1_22reduce_config_selectorIiEEZNS1_11reduce_implILb1ES3_N6thrust23THRUST_200600_302600_NS11hip_rocprim35transform_pair_of_input_iterators_tIiNS8_6detail15normal_iteratorINS8_10device_ptrIKcEEEESG_13is_word_startEEPiiNS8_4plusIiEEEE10hipError_tPvRmT1_T2_T3_mT4_P12ihipStream_tbEUlT_E1_NS1_11comp_targetILNS1_3genE9ELNS1_11target_archE1100ELNS1_3gpuE3ELNS1_3repE0EEENS1_30default_config_static_selectorELNS0_4arch9wavefront6targetE1EEEvSP_
	.p2align	8
	.type	_ZN7rocprim17ROCPRIM_400000_NS6detail17trampoline_kernelINS0_14default_configENS1_22reduce_config_selectorIiEEZNS1_11reduce_implILb1ES3_N6thrust23THRUST_200600_302600_NS11hip_rocprim35transform_pair_of_input_iterators_tIiNS8_6detail15normal_iteratorINS8_10device_ptrIKcEEEESG_13is_word_startEEPiiNS8_4plusIiEEEE10hipError_tPvRmT1_T2_T3_mT4_P12ihipStream_tbEUlT_E1_NS1_11comp_targetILNS1_3genE9ELNS1_11target_archE1100ELNS1_3gpuE3ELNS1_3repE0EEENS1_30default_config_static_selectorELNS0_4arch9wavefront6targetE1EEEvSP_,@function
_ZN7rocprim17ROCPRIM_400000_NS6detail17trampoline_kernelINS0_14default_configENS1_22reduce_config_selectorIiEEZNS1_11reduce_implILb1ES3_N6thrust23THRUST_200600_302600_NS11hip_rocprim35transform_pair_of_input_iterators_tIiNS8_6detail15normal_iteratorINS8_10device_ptrIKcEEEESG_13is_word_startEEPiiNS8_4plusIiEEEE10hipError_tPvRmT1_T2_T3_mT4_P12ihipStream_tbEUlT_E1_NS1_11comp_targetILNS1_3genE9ELNS1_11target_archE1100ELNS1_3gpuE3ELNS1_3repE0EEENS1_30default_config_static_selectorELNS0_4arch9wavefront6targetE1EEEvSP_: ; @_ZN7rocprim17ROCPRIM_400000_NS6detail17trampoline_kernelINS0_14default_configENS1_22reduce_config_selectorIiEEZNS1_11reduce_implILb1ES3_N6thrust23THRUST_200600_302600_NS11hip_rocprim35transform_pair_of_input_iterators_tIiNS8_6detail15normal_iteratorINS8_10device_ptrIKcEEEESG_13is_word_startEEPiiNS8_4plusIiEEEE10hipError_tPvRmT1_T2_T3_mT4_P12ihipStream_tbEUlT_E1_NS1_11comp_targetILNS1_3genE9ELNS1_11target_archE1100ELNS1_3gpuE3ELNS1_3repE0EEENS1_30default_config_static_selectorELNS0_4arch9wavefront6targetE1EEEvSP_
; %bb.0:
	.section	.rodata,"a",@progbits
	.p2align	6, 0x0
	.amdhsa_kernel _ZN7rocprim17ROCPRIM_400000_NS6detail17trampoline_kernelINS0_14default_configENS1_22reduce_config_selectorIiEEZNS1_11reduce_implILb1ES3_N6thrust23THRUST_200600_302600_NS11hip_rocprim35transform_pair_of_input_iterators_tIiNS8_6detail15normal_iteratorINS8_10device_ptrIKcEEEESG_13is_word_startEEPiiNS8_4plusIiEEEE10hipError_tPvRmT1_T2_T3_mT4_P12ihipStream_tbEUlT_E1_NS1_11comp_targetILNS1_3genE9ELNS1_11target_archE1100ELNS1_3gpuE3ELNS1_3repE0EEENS1_30default_config_static_selectorELNS0_4arch9wavefront6targetE1EEEvSP_
		.amdhsa_group_segment_fixed_size 0
		.amdhsa_private_segment_fixed_size 0
		.amdhsa_kernarg_size 56
		.amdhsa_user_sgpr_count 6
		.amdhsa_user_sgpr_private_segment_buffer 1
		.amdhsa_user_sgpr_dispatch_ptr 0
		.amdhsa_user_sgpr_queue_ptr 0
		.amdhsa_user_sgpr_kernarg_segment_ptr 1
		.amdhsa_user_sgpr_dispatch_id 0
		.amdhsa_user_sgpr_flat_scratch_init 0
		.amdhsa_user_sgpr_kernarg_preload_length 0
		.amdhsa_user_sgpr_kernarg_preload_offset 0
		.amdhsa_user_sgpr_private_segment_size 0
		.amdhsa_uses_dynamic_stack 0
		.amdhsa_system_sgpr_private_segment_wavefront_offset 0
		.amdhsa_system_sgpr_workgroup_id_x 1
		.amdhsa_system_sgpr_workgroup_id_y 0
		.amdhsa_system_sgpr_workgroup_id_z 0
		.amdhsa_system_sgpr_workgroup_info 0
		.amdhsa_system_vgpr_workitem_id 0
		.amdhsa_next_free_vgpr 1
		.amdhsa_next_free_sgpr 0
		.amdhsa_accum_offset 4
		.amdhsa_reserve_vcc 0
		.amdhsa_reserve_flat_scratch 0
		.amdhsa_float_round_mode_32 0
		.amdhsa_float_round_mode_16_64 0
		.amdhsa_float_denorm_mode_32 3
		.amdhsa_float_denorm_mode_16_64 3
		.amdhsa_dx10_clamp 1
		.amdhsa_ieee_mode 1
		.amdhsa_fp16_overflow 0
		.amdhsa_tg_split 0
		.amdhsa_exception_fp_ieee_invalid_op 0
		.amdhsa_exception_fp_denorm_src 0
		.amdhsa_exception_fp_ieee_div_zero 0
		.amdhsa_exception_fp_ieee_overflow 0
		.amdhsa_exception_fp_ieee_underflow 0
		.amdhsa_exception_fp_ieee_inexact 0
		.amdhsa_exception_int_div_zero 0
	.end_amdhsa_kernel
	.section	.text._ZN7rocprim17ROCPRIM_400000_NS6detail17trampoline_kernelINS0_14default_configENS1_22reduce_config_selectorIiEEZNS1_11reduce_implILb1ES3_N6thrust23THRUST_200600_302600_NS11hip_rocprim35transform_pair_of_input_iterators_tIiNS8_6detail15normal_iteratorINS8_10device_ptrIKcEEEESG_13is_word_startEEPiiNS8_4plusIiEEEE10hipError_tPvRmT1_T2_T3_mT4_P12ihipStream_tbEUlT_E1_NS1_11comp_targetILNS1_3genE9ELNS1_11target_archE1100ELNS1_3gpuE3ELNS1_3repE0EEENS1_30default_config_static_selectorELNS0_4arch9wavefront6targetE1EEEvSP_,"axG",@progbits,_ZN7rocprim17ROCPRIM_400000_NS6detail17trampoline_kernelINS0_14default_configENS1_22reduce_config_selectorIiEEZNS1_11reduce_implILb1ES3_N6thrust23THRUST_200600_302600_NS11hip_rocprim35transform_pair_of_input_iterators_tIiNS8_6detail15normal_iteratorINS8_10device_ptrIKcEEEESG_13is_word_startEEPiiNS8_4plusIiEEEE10hipError_tPvRmT1_T2_T3_mT4_P12ihipStream_tbEUlT_E1_NS1_11comp_targetILNS1_3genE9ELNS1_11target_archE1100ELNS1_3gpuE3ELNS1_3repE0EEENS1_30default_config_static_selectorELNS0_4arch9wavefront6targetE1EEEvSP_,comdat
.Lfunc_end34:
	.size	_ZN7rocprim17ROCPRIM_400000_NS6detail17trampoline_kernelINS0_14default_configENS1_22reduce_config_selectorIiEEZNS1_11reduce_implILb1ES3_N6thrust23THRUST_200600_302600_NS11hip_rocprim35transform_pair_of_input_iterators_tIiNS8_6detail15normal_iteratorINS8_10device_ptrIKcEEEESG_13is_word_startEEPiiNS8_4plusIiEEEE10hipError_tPvRmT1_T2_T3_mT4_P12ihipStream_tbEUlT_E1_NS1_11comp_targetILNS1_3genE9ELNS1_11target_archE1100ELNS1_3gpuE3ELNS1_3repE0EEENS1_30default_config_static_selectorELNS0_4arch9wavefront6targetE1EEEvSP_, .Lfunc_end34-_ZN7rocprim17ROCPRIM_400000_NS6detail17trampoline_kernelINS0_14default_configENS1_22reduce_config_selectorIiEEZNS1_11reduce_implILb1ES3_N6thrust23THRUST_200600_302600_NS11hip_rocprim35transform_pair_of_input_iterators_tIiNS8_6detail15normal_iteratorINS8_10device_ptrIKcEEEESG_13is_word_startEEPiiNS8_4plusIiEEEE10hipError_tPvRmT1_T2_T3_mT4_P12ihipStream_tbEUlT_E1_NS1_11comp_targetILNS1_3genE9ELNS1_11target_archE1100ELNS1_3gpuE3ELNS1_3repE0EEENS1_30default_config_static_selectorELNS0_4arch9wavefront6targetE1EEEvSP_
                                        ; -- End function
	.section	.AMDGPU.csdata,"",@progbits
; Kernel info:
; codeLenInByte = 0
; NumSgprs: 4
; NumVgprs: 0
; NumAgprs: 0
; TotalNumVgprs: 0
; ScratchSize: 0
; MemoryBound: 0
; FloatMode: 240
; IeeeMode: 1
; LDSByteSize: 0 bytes/workgroup (compile time only)
; SGPRBlocks: 0
; VGPRBlocks: 0
; NumSGPRsForWavesPerEU: 4
; NumVGPRsForWavesPerEU: 1
; AccumOffset: 4
; Occupancy: 8
; WaveLimiterHint : 0
; COMPUTE_PGM_RSRC2:SCRATCH_EN: 0
; COMPUTE_PGM_RSRC2:USER_SGPR: 6
; COMPUTE_PGM_RSRC2:TRAP_HANDLER: 0
; COMPUTE_PGM_RSRC2:TGID_X_EN: 1
; COMPUTE_PGM_RSRC2:TGID_Y_EN: 0
; COMPUTE_PGM_RSRC2:TGID_Z_EN: 0
; COMPUTE_PGM_RSRC2:TIDIG_COMP_CNT: 0
; COMPUTE_PGM_RSRC3_GFX90A:ACCUM_OFFSET: 0
; COMPUTE_PGM_RSRC3_GFX90A:TG_SPLIT: 0
	.section	.text._ZN7rocprim17ROCPRIM_400000_NS6detail17trampoline_kernelINS0_14default_configENS1_22reduce_config_selectorIiEEZNS1_11reduce_implILb1ES3_N6thrust23THRUST_200600_302600_NS11hip_rocprim35transform_pair_of_input_iterators_tIiNS8_6detail15normal_iteratorINS8_10device_ptrIKcEEEESG_13is_word_startEEPiiNS8_4plusIiEEEE10hipError_tPvRmT1_T2_T3_mT4_P12ihipStream_tbEUlT_E1_NS1_11comp_targetILNS1_3genE8ELNS1_11target_archE1030ELNS1_3gpuE2ELNS1_3repE0EEENS1_30default_config_static_selectorELNS0_4arch9wavefront6targetE1EEEvSP_,"axG",@progbits,_ZN7rocprim17ROCPRIM_400000_NS6detail17trampoline_kernelINS0_14default_configENS1_22reduce_config_selectorIiEEZNS1_11reduce_implILb1ES3_N6thrust23THRUST_200600_302600_NS11hip_rocprim35transform_pair_of_input_iterators_tIiNS8_6detail15normal_iteratorINS8_10device_ptrIKcEEEESG_13is_word_startEEPiiNS8_4plusIiEEEE10hipError_tPvRmT1_T2_T3_mT4_P12ihipStream_tbEUlT_E1_NS1_11comp_targetILNS1_3genE8ELNS1_11target_archE1030ELNS1_3gpuE2ELNS1_3repE0EEENS1_30default_config_static_selectorELNS0_4arch9wavefront6targetE1EEEvSP_,comdat
	.protected	_ZN7rocprim17ROCPRIM_400000_NS6detail17trampoline_kernelINS0_14default_configENS1_22reduce_config_selectorIiEEZNS1_11reduce_implILb1ES3_N6thrust23THRUST_200600_302600_NS11hip_rocprim35transform_pair_of_input_iterators_tIiNS8_6detail15normal_iteratorINS8_10device_ptrIKcEEEESG_13is_word_startEEPiiNS8_4plusIiEEEE10hipError_tPvRmT1_T2_T3_mT4_P12ihipStream_tbEUlT_E1_NS1_11comp_targetILNS1_3genE8ELNS1_11target_archE1030ELNS1_3gpuE2ELNS1_3repE0EEENS1_30default_config_static_selectorELNS0_4arch9wavefront6targetE1EEEvSP_ ; -- Begin function _ZN7rocprim17ROCPRIM_400000_NS6detail17trampoline_kernelINS0_14default_configENS1_22reduce_config_selectorIiEEZNS1_11reduce_implILb1ES3_N6thrust23THRUST_200600_302600_NS11hip_rocprim35transform_pair_of_input_iterators_tIiNS8_6detail15normal_iteratorINS8_10device_ptrIKcEEEESG_13is_word_startEEPiiNS8_4plusIiEEEE10hipError_tPvRmT1_T2_T3_mT4_P12ihipStream_tbEUlT_E1_NS1_11comp_targetILNS1_3genE8ELNS1_11target_archE1030ELNS1_3gpuE2ELNS1_3repE0EEENS1_30default_config_static_selectorELNS0_4arch9wavefront6targetE1EEEvSP_
	.globl	_ZN7rocprim17ROCPRIM_400000_NS6detail17trampoline_kernelINS0_14default_configENS1_22reduce_config_selectorIiEEZNS1_11reduce_implILb1ES3_N6thrust23THRUST_200600_302600_NS11hip_rocprim35transform_pair_of_input_iterators_tIiNS8_6detail15normal_iteratorINS8_10device_ptrIKcEEEESG_13is_word_startEEPiiNS8_4plusIiEEEE10hipError_tPvRmT1_T2_T3_mT4_P12ihipStream_tbEUlT_E1_NS1_11comp_targetILNS1_3genE8ELNS1_11target_archE1030ELNS1_3gpuE2ELNS1_3repE0EEENS1_30default_config_static_selectorELNS0_4arch9wavefront6targetE1EEEvSP_
	.p2align	8
	.type	_ZN7rocprim17ROCPRIM_400000_NS6detail17trampoline_kernelINS0_14default_configENS1_22reduce_config_selectorIiEEZNS1_11reduce_implILb1ES3_N6thrust23THRUST_200600_302600_NS11hip_rocprim35transform_pair_of_input_iterators_tIiNS8_6detail15normal_iteratorINS8_10device_ptrIKcEEEESG_13is_word_startEEPiiNS8_4plusIiEEEE10hipError_tPvRmT1_T2_T3_mT4_P12ihipStream_tbEUlT_E1_NS1_11comp_targetILNS1_3genE8ELNS1_11target_archE1030ELNS1_3gpuE2ELNS1_3repE0EEENS1_30default_config_static_selectorELNS0_4arch9wavefront6targetE1EEEvSP_,@function
_ZN7rocprim17ROCPRIM_400000_NS6detail17trampoline_kernelINS0_14default_configENS1_22reduce_config_selectorIiEEZNS1_11reduce_implILb1ES3_N6thrust23THRUST_200600_302600_NS11hip_rocprim35transform_pair_of_input_iterators_tIiNS8_6detail15normal_iteratorINS8_10device_ptrIKcEEEESG_13is_word_startEEPiiNS8_4plusIiEEEE10hipError_tPvRmT1_T2_T3_mT4_P12ihipStream_tbEUlT_E1_NS1_11comp_targetILNS1_3genE8ELNS1_11target_archE1030ELNS1_3gpuE2ELNS1_3repE0EEENS1_30default_config_static_selectorELNS0_4arch9wavefront6targetE1EEEvSP_: ; @_ZN7rocprim17ROCPRIM_400000_NS6detail17trampoline_kernelINS0_14default_configENS1_22reduce_config_selectorIiEEZNS1_11reduce_implILb1ES3_N6thrust23THRUST_200600_302600_NS11hip_rocprim35transform_pair_of_input_iterators_tIiNS8_6detail15normal_iteratorINS8_10device_ptrIKcEEEESG_13is_word_startEEPiiNS8_4plusIiEEEE10hipError_tPvRmT1_T2_T3_mT4_P12ihipStream_tbEUlT_E1_NS1_11comp_targetILNS1_3genE8ELNS1_11target_archE1030ELNS1_3gpuE2ELNS1_3repE0EEENS1_30default_config_static_selectorELNS0_4arch9wavefront6targetE1EEEvSP_
; %bb.0:
	.section	.rodata,"a",@progbits
	.p2align	6, 0x0
	.amdhsa_kernel _ZN7rocprim17ROCPRIM_400000_NS6detail17trampoline_kernelINS0_14default_configENS1_22reduce_config_selectorIiEEZNS1_11reduce_implILb1ES3_N6thrust23THRUST_200600_302600_NS11hip_rocprim35transform_pair_of_input_iterators_tIiNS8_6detail15normal_iteratorINS8_10device_ptrIKcEEEESG_13is_word_startEEPiiNS8_4plusIiEEEE10hipError_tPvRmT1_T2_T3_mT4_P12ihipStream_tbEUlT_E1_NS1_11comp_targetILNS1_3genE8ELNS1_11target_archE1030ELNS1_3gpuE2ELNS1_3repE0EEENS1_30default_config_static_selectorELNS0_4arch9wavefront6targetE1EEEvSP_
		.amdhsa_group_segment_fixed_size 0
		.amdhsa_private_segment_fixed_size 0
		.amdhsa_kernarg_size 56
		.amdhsa_user_sgpr_count 6
		.amdhsa_user_sgpr_private_segment_buffer 1
		.amdhsa_user_sgpr_dispatch_ptr 0
		.amdhsa_user_sgpr_queue_ptr 0
		.amdhsa_user_sgpr_kernarg_segment_ptr 1
		.amdhsa_user_sgpr_dispatch_id 0
		.amdhsa_user_sgpr_flat_scratch_init 0
		.amdhsa_user_sgpr_kernarg_preload_length 0
		.amdhsa_user_sgpr_kernarg_preload_offset 0
		.amdhsa_user_sgpr_private_segment_size 0
		.amdhsa_uses_dynamic_stack 0
		.amdhsa_system_sgpr_private_segment_wavefront_offset 0
		.amdhsa_system_sgpr_workgroup_id_x 1
		.amdhsa_system_sgpr_workgroup_id_y 0
		.amdhsa_system_sgpr_workgroup_id_z 0
		.amdhsa_system_sgpr_workgroup_info 0
		.amdhsa_system_vgpr_workitem_id 0
		.amdhsa_next_free_vgpr 1
		.amdhsa_next_free_sgpr 0
		.amdhsa_accum_offset 4
		.amdhsa_reserve_vcc 0
		.amdhsa_reserve_flat_scratch 0
		.amdhsa_float_round_mode_32 0
		.amdhsa_float_round_mode_16_64 0
		.amdhsa_float_denorm_mode_32 3
		.amdhsa_float_denorm_mode_16_64 3
		.amdhsa_dx10_clamp 1
		.amdhsa_ieee_mode 1
		.amdhsa_fp16_overflow 0
		.amdhsa_tg_split 0
		.amdhsa_exception_fp_ieee_invalid_op 0
		.amdhsa_exception_fp_denorm_src 0
		.amdhsa_exception_fp_ieee_div_zero 0
		.amdhsa_exception_fp_ieee_overflow 0
		.amdhsa_exception_fp_ieee_underflow 0
		.amdhsa_exception_fp_ieee_inexact 0
		.amdhsa_exception_int_div_zero 0
	.end_amdhsa_kernel
	.section	.text._ZN7rocprim17ROCPRIM_400000_NS6detail17trampoline_kernelINS0_14default_configENS1_22reduce_config_selectorIiEEZNS1_11reduce_implILb1ES3_N6thrust23THRUST_200600_302600_NS11hip_rocprim35transform_pair_of_input_iterators_tIiNS8_6detail15normal_iteratorINS8_10device_ptrIKcEEEESG_13is_word_startEEPiiNS8_4plusIiEEEE10hipError_tPvRmT1_T2_T3_mT4_P12ihipStream_tbEUlT_E1_NS1_11comp_targetILNS1_3genE8ELNS1_11target_archE1030ELNS1_3gpuE2ELNS1_3repE0EEENS1_30default_config_static_selectorELNS0_4arch9wavefront6targetE1EEEvSP_,"axG",@progbits,_ZN7rocprim17ROCPRIM_400000_NS6detail17trampoline_kernelINS0_14default_configENS1_22reduce_config_selectorIiEEZNS1_11reduce_implILb1ES3_N6thrust23THRUST_200600_302600_NS11hip_rocprim35transform_pair_of_input_iterators_tIiNS8_6detail15normal_iteratorINS8_10device_ptrIKcEEEESG_13is_word_startEEPiiNS8_4plusIiEEEE10hipError_tPvRmT1_T2_T3_mT4_P12ihipStream_tbEUlT_E1_NS1_11comp_targetILNS1_3genE8ELNS1_11target_archE1030ELNS1_3gpuE2ELNS1_3repE0EEENS1_30default_config_static_selectorELNS0_4arch9wavefront6targetE1EEEvSP_,comdat
.Lfunc_end35:
	.size	_ZN7rocprim17ROCPRIM_400000_NS6detail17trampoline_kernelINS0_14default_configENS1_22reduce_config_selectorIiEEZNS1_11reduce_implILb1ES3_N6thrust23THRUST_200600_302600_NS11hip_rocprim35transform_pair_of_input_iterators_tIiNS8_6detail15normal_iteratorINS8_10device_ptrIKcEEEESG_13is_word_startEEPiiNS8_4plusIiEEEE10hipError_tPvRmT1_T2_T3_mT4_P12ihipStream_tbEUlT_E1_NS1_11comp_targetILNS1_3genE8ELNS1_11target_archE1030ELNS1_3gpuE2ELNS1_3repE0EEENS1_30default_config_static_selectorELNS0_4arch9wavefront6targetE1EEEvSP_, .Lfunc_end35-_ZN7rocprim17ROCPRIM_400000_NS6detail17trampoline_kernelINS0_14default_configENS1_22reduce_config_selectorIiEEZNS1_11reduce_implILb1ES3_N6thrust23THRUST_200600_302600_NS11hip_rocprim35transform_pair_of_input_iterators_tIiNS8_6detail15normal_iteratorINS8_10device_ptrIKcEEEESG_13is_word_startEEPiiNS8_4plusIiEEEE10hipError_tPvRmT1_T2_T3_mT4_P12ihipStream_tbEUlT_E1_NS1_11comp_targetILNS1_3genE8ELNS1_11target_archE1030ELNS1_3gpuE2ELNS1_3repE0EEENS1_30default_config_static_selectorELNS0_4arch9wavefront6targetE1EEEvSP_
                                        ; -- End function
	.section	.AMDGPU.csdata,"",@progbits
; Kernel info:
; codeLenInByte = 0
; NumSgprs: 4
; NumVgprs: 0
; NumAgprs: 0
; TotalNumVgprs: 0
; ScratchSize: 0
; MemoryBound: 0
; FloatMode: 240
; IeeeMode: 1
; LDSByteSize: 0 bytes/workgroup (compile time only)
; SGPRBlocks: 0
; VGPRBlocks: 0
; NumSGPRsForWavesPerEU: 4
; NumVGPRsForWavesPerEU: 1
; AccumOffset: 4
; Occupancy: 8
; WaveLimiterHint : 0
; COMPUTE_PGM_RSRC2:SCRATCH_EN: 0
; COMPUTE_PGM_RSRC2:USER_SGPR: 6
; COMPUTE_PGM_RSRC2:TRAP_HANDLER: 0
; COMPUTE_PGM_RSRC2:TGID_X_EN: 1
; COMPUTE_PGM_RSRC2:TGID_Y_EN: 0
; COMPUTE_PGM_RSRC2:TGID_Z_EN: 0
; COMPUTE_PGM_RSRC2:TIDIG_COMP_CNT: 0
; COMPUTE_PGM_RSRC3_GFX90A:ACCUM_OFFSET: 0
; COMPUTE_PGM_RSRC3_GFX90A:TG_SPLIT: 0
	.text
	.p2alignl 6, 3212836864
	.fill 256, 4, 3212836864
	.type	__hip_cuid_7dbfceda2bb9014b,@object ; @__hip_cuid_7dbfceda2bb9014b
	.section	.bss,"aw",@nobits
	.globl	__hip_cuid_7dbfceda2bb9014b
__hip_cuid_7dbfceda2bb9014b:
	.byte	0                               ; 0x0
	.size	__hip_cuid_7dbfceda2bb9014b, 1

	.ident	"AMD clang version 19.0.0git (https://github.com/RadeonOpenCompute/llvm-project roc-6.4.0 25133 c7fe45cf4b819c5991fe208aaa96edf142730f1d)"
	.section	".note.GNU-stack","",@progbits
	.addrsig
	.addrsig_sym __hip_cuid_7dbfceda2bb9014b
	.amdgpu_metadata
---
amdhsa.kernels:
  - .agpr_count:     0
    .args:
      - .offset:         0
        .size:           56
        .value_kind:     by_value
    .group_segment_fixed_size: 0
    .kernarg_segment_align: 8
    .kernarg_segment_size: 56
    .language:       OpenCL C
    .language_version:
      - 2
      - 0
    .max_flat_workgroup_size: 256
    .name:           _ZN7rocprim17ROCPRIM_400000_NS6detail17trampoline_kernelINS0_14default_configENS1_22reduce_config_selectorIiEEZNS1_11reduce_implILb1ES3_PiS7_iN6thrust23THRUST_200600_302600_NS4plusIiEEEE10hipError_tPvRmT1_T2_T3_mT4_P12ihipStream_tbEUlT_E0_NS1_11comp_targetILNS1_3genE0ELNS1_11target_archE4294967295ELNS1_3gpuE0ELNS1_3repE0EEENS1_30default_config_static_selectorELNS0_4arch9wavefront6targetE1EEEvSF_
    .private_segment_fixed_size: 0
    .sgpr_count:     4
    .sgpr_spill_count: 0
    .symbol:         _ZN7rocprim17ROCPRIM_400000_NS6detail17trampoline_kernelINS0_14default_configENS1_22reduce_config_selectorIiEEZNS1_11reduce_implILb1ES3_PiS7_iN6thrust23THRUST_200600_302600_NS4plusIiEEEE10hipError_tPvRmT1_T2_T3_mT4_P12ihipStream_tbEUlT_E0_NS1_11comp_targetILNS1_3genE0ELNS1_11target_archE4294967295ELNS1_3gpuE0ELNS1_3repE0EEENS1_30default_config_static_selectorELNS0_4arch9wavefront6targetE1EEEvSF_.kd
    .uniform_work_group_size: 1
    .uses_dynamic_stack: false
    .vgpr_count:     0
    .vgpr_spill_count: 0
    .wavefront_size: 64
  - .agpr_count:     0
    .args:
      - .offset:         0
        .size:           56
        .value_kind:     by_value
    .group_segment_fixed_size: 0
    .kernarg_segment_align: 8
    .kernarg_segment_size: 56
    .language:       OpenCL C
    .language_version:
      - 2
      - 0
    .max_flat_workgroup_size: 256
    .name:           _ZN7rocprim17ROCPRIM_400000_NS6detail17trampoline_kernelINS0_14default_configENS1_22reduce_config_selectorIiEEZNS1_11reduce_implILb1ES3_PiS7_iN6thrust23THRUST_200600_302600_NS4plusIiEEEE10hipError_tPvRmT1_T2_T3_mT4_P12ihipStream_tbEUlT_E0_NS1_11comp_targetILNS1_3genE5ELNS1_11target_archE942ELNS1_3gpuE9ELNS1_3repE0EEENS1_30default_config_static_selectorELNS0_4arch9wavefront6targetE1EEEvSF_
    .private_segment_fixed_size: 0
    .sgpr_count:     4
    .sgpr_spill_count: 0
    .symbol:         _ZN7rocprim17ROCPRIM_400000_NS6detail17trampoline_kernelINS0_14default_configENS1_22reduce_config_selectorIiEEZNS1_11reduce_implILb1ES3_PiS7_iN6thrust23THRUST_200600_302600_NS4plusIiEEEE10hipError_tPvRmT1_T2_T3_mT4_P12ihipStream_tbEUlT_E0_NS1_11comp_targetILNS1_3genE5ELNS1_11target_archE942ELNS1_3gpuE9ELNS1_3repE0EEENS1_30default_config_static_selectorELNS0_4arch9wavefront6targetE1EEEvSF_.kd
    .uniform_work_group_size: 1
    .uses_dynamic_stack: false
    .vgpr_count:     0
    .vgpr_spill_count: 0
    .wavefront_size: 64
  - .agpr_count:     0
    .args:
      - .offset:         0
        .size:           56
        .value_kind:     by_value
    .group_segment_fixed_size: 16
    .kernarg_segment_align: 8
    .kernarg_segment_size: 56
    .language:       OpenCL C
    .language_version:
      - 2
      - 0
    .max_flat_workgroup_size: 128
    .name:           _ZN7rocprim17ROCPRIM_400000_NS6detail17trampoline_kernelINS0_14default_configENS1_22reduce_config_selectorIiEEZNS1_11reduce_implILb1ES3_PiS7_iN6thrust23THRUST_200600_302600_NS4plusIiEEEE10hipError_tPvRmT1_T2_T3_mT4_P12ihipStream_tbEUlT_E0_NS1_11comp_targetILNS1_3genE4ELNS1_11target_archE910ELNS1_3gpuE8ELNS1_3repE0EEENS1_30default_config_static_selectorELNS0_4arch9wavefront6targetE1EEEvSF_
    .private_segment_fixed_size: 0
    .sgpr_count:     32
    .sgpr_spill_count: 0
    .symbol:         _ZN7rocprim17ROCPRIM_400000_NS6detail17trampoline_kernelINS0_14default_configENS1_22reduce_config_selectorIiEEZNS1_11reduce_implILb1ES3_PiS7_iN6thrust23THRUST_200600_302600_NS4plusIiEEEE10hipError_tPvRmT1_T2_T3_mT4_P12ihipStream_tbEUlT_E0_NS1_11comp_targetILNS1_3genE4ELNS1_11target_archE910ELNS1_3gpuE8ELNS1_3repE0EEENS1_30default_config_static_selectorELNS0_4arch9wavefront6targetE1EEEvSF_.kd
    .uniform_work_group_size: 1
    .uses_dynamic_stack: false
    .vgpr_count:     13
    .vgpr_spill_count: 0
    .wavefront_size: 64
  - .agpr_count:     0
    .args:
      - .offset:         0
        .size:           56
        .value_kind:     by_value
    .group_segment_fixed_size: 0
    .kernarg_segment_align: 8
    .kernarg_segment_size: 56
    .language:       OpenCL C
    .language_version:
      - 2
      - 0
    .max_flat_workgroup_size: 256
    .name:           _ZN7rocprim17ROCPRIM_400000_NS6detail17trampoline_kernelINS0_14default_configENS1_22reduce_config_selectorIiEEZNS1_11reduce_implILb1ES3_PiS7_iN6thrust23THRUST_200600_302600_NS4plusIiEEEE10hipError_tPvRmT1_T2_T3_mT4_P12ihipStream_tbEUlT_E0_NS1_11comp_targetILNS1_3genE3ELNS1_11target_archE908ELNS1_3gpuE7ELNS1_3repE0EEENS1_30default_config_static_selectorELNS0_4arch9wavefront6targetE1EEEvSF_
    .private_segment_fixed_size: 0
    .sgpr_count:     4
    .sgpr_spill_count: 0
    .symbol:         _ZN7rocprim17ROCPRIM_400000_NS6detail17trampoline_kernelINS0_14default_configENS1_22reduce_config_selectorIiEEZNS1_11reduce_implILb1ES3_PiS7_iN6thrust23THRUST_200600_302600_NS4plusIiEEEE10hipError_tPvRmT1_T2_T3_mT4_P12ihipStream_tbEUlT_E0_NS1_11comp_targetILNS1_3genE3ELNS1_11target_archE908ELNS1_3gpuE7ELNS1_3repE0EEENS1_30default_config_static_selectorELNS0_4arch9wavefront6targetE1EEEvSF_.kd
    .uniform_work_group_size: 1
    .uses_dynamic_stack: false
    .vgpr_count:     0
    .vgpr_spill_count: 0
    .wavefront_size: 64
  - .agpr_count:     0
    .args:
      - .offset:         0
        .size:           56
        .value_kind:     by_value
    .group_segment_fixed_size: 0
    .kernarg_segment_align: 8
    .kernarg_segment_size: 56
    .language:       OpenCL C
    .language_version:
      - 2
      - 0
    .max_flat_workgroup_size: 256
    .name:           _ZN7rocprim17ROCPRIM_400000_NS6detail17trampoline_kernelINS0_14default_configENS1_22reduce_config_selectorIiEEZNS1_11reduce_implILb1ES3_PiS7_iN6thrust23THRUST_200600_302600_NS4plusIiEEEE10hipError_tPvRmT1_T2_T3_mT4_P12ihipStream_tbEUlT_E0_NS1_11comp_targetILNS1_3genE2ELNS1_11target_archE906ELNS1_3gpuE6ELNS1_3repE0EEENS1_30default_config_static_selectorELNS0_4arch9wavefront6targetE1EEEvSF_
    .private_segment_fixed_size: 0
    .sgpr_count:     4
    .sgpr_spill_count: 0
    .symbol:         _ZN7rocprim17ROCPRIM_400000_NS6detail17trampoline_kernelINS0_14default_configENS1_22reduce_config_selectorIiEEZNS1_11reduce_implILb1ES3_PiS7_iN6thrust23THRUST_200600_302600_NS4plusIiEEEE10hipError_tPvRmT1_T2_T3_mT4_P12ihipStream_tbEUlT_E0_NS1_11comp_targetILNS1_3genE2ELNS1_11target_archE906ELNS1_3gpuE6ELNS1_3repE0EEENS1_30default_config_static_selectorELNS0_4arch9wavefront6targetE1EEEvSF_.kd
    .uniform_work_group_size: 1
    .uses_dynamic_stack: false
    .vgpr_count:     0
    .vgpr_spill_count: 0
    .wavefront_size: 64
  - .agpr_count:     0
    .args:
      - .offset:         0
        .size:           56
        .value_kind:     by_value
    .group_segment_fixed_size: 0
    .kernarg_segment_align: 8
    .kernarg_segment_size: 56
    .language:       OpenCL C
    .language_version:
      - 2
      - 0
    .max_flat_workgroup_size: 256
    .name:           _ZN7rocprim17ROCPRIM_400000_NS6detail17trampoline_kernelINS0_14default_configENS1_22reduce_config_selectorIiEEZNS1_11reduce_implILb1ES3_PiS7_iN6thrust23THRUST_200600_302600_NS4plusIiEEEE10hipError_tPvRmT1_T2_T3_mT4_P12ihipStream_tbEUlT_E0_NS1_11comp_targetILNS1_3genE10ELNS1_11target_archE1201ELNS1_3gpuE5ELNS1_3repE0EEENS1_30default_config_static_selectorELNS0_4arch9wavefront6targetE1EEEvSF_
    .private_segment_fixed_size: 0
    .sgpr_count:     4
    .sgpr_spill_count: 0
    .symbol:         _ZN7rocprim17ROCPRIM_400000_NS6detail17trampoline_kernelINS0_14default_configENS1_22reduce_config_selectorIiEEZNS1_11reduce_implILb1ES3_PiS7_iN6thrust23THRUST_200600_302600_NS4plusIiEEEE10hipError_tPvRmT1_T2_T3_mT4_P12ihipStream_tbEUlT_E0_NS1_11comp_targetILNS1_3genE10ELNS1_11target_archE1201ELNS1_3gpuE5ELNS1_3repE0EEENS1_30default_config_static_selectorELNS0_4arch9wavefront6targetE1EEEvSF_.kd
    .uniform_work_group_size: 1
    .uses_dynamic_stack: false
    .vgpr_count:     0
    .vgpr_spill_count: 0
    .wavefront_size: 64
  - .agpr_count:     0
    .args:
      - .offset:         0
        .size:           56
        .value_kind:     by_value
    .group_segment_fixed_size: 0
    .kernarg_segment_align: 8
    .kernarg_segment_size: 56
    .language:       OpenCL C
    .language_version:
      - 2
      - 0
    .max_flat_workgroup_size: 256
    .name:           _ZN7rocprim17ROCPRIM_400000_NS6detail17trampoline_kernelINS0_14default_configENS1_22reduce_config_selectorIiEEZNS1_11reduce_implILb1ES3_PiS7_iN6thrust23THRUST_200600_302600_NS4plusIiEEEE10hipError_tPvRmT1_T2_T3_mT4_P12ihipStream_tbEUlT_E0_NS1_11comp_targetILNS1_3genE10ELNS1_11target_archE1200ELNS1_3gpuE4ELNS1_3repE0EEENS1_30default_config_static_selectorELNS0_4arch9wavefront6targetE1EEEvSF_
    .private_segment_fixed_size: 0
    .sgpr_count:     4
    .sgpr_spill_count: 0
    .symbol:         _ZN7rocprim17ROCPRIM_400000_NS6detail17trampoline_kernelINS0_14default_configENS1_22reduce_config_selectorIiEEZNS1_11reduce_implILb1ES3_PiS7_iN6thrust23THRUST_200600_302600_NS4plusIiEEEE10hipError_tPvRmT1_T2_T3_mT4_P12ihipStream_tbEUlT_E0_NS1_11comp_targetILNS1_3genE10ELNS1_11target_archE1200ELNS1_3gpuE4ELNS1_3repE0EEENS1_30default_config_static_selectorELNS0_4arch9wavefront6targetE1EEEvSF_.kd
    .uniform_work_group_size: 1
    .uses_dynamic_stack: false
    .vgpr_count:     0
    .vgpr_spill_count: 0
    .wavefront_size: 64
  - .agpr_count:     0
    .args:
      - .offset:         0
        .size:           56
        .value_kind:     by_value
    .group_segment_fixed_size: 0
    .kernarg_segment_align: 8
    .kernarg_segment_size: 56
    .language:       OpenCL C
    .language_version:
      - 2
      - 0
    .max_flat_workgroup_size: 256
    .name:           _ZN7rocprim17ROCPRIM_400000_NS6detail17trampoline_kernelINS0_14default_configENS1_22reduce_config_selectorIiEEZNS1_11reduce_implILb1ES3_PiS7_iN6thrust23THRUST_200600_302600_NS4plusIiEEEE10hipError_tPvRmT1_T2_T3_mT4_P12ihipStream_tbEUlT_E0_NS1_11comp_targetILNS1_3genE9ELNS1_11target_archE1100ELNS1_3gpuE3ELNS1_3repE0EEENS1_30default_config_static_selectorELNS0_4arch9wavefront6targetE1EEEvSF_
    .private_segment_fixed_size: 0
    .sgpr_count:     4
    .sgpr_spill_count: 0
    .symbol:         _ZN7rocprim17ROCPRIM_400000_NS6detail17trampoline_kernelINS0_14default_configENS1_22reduce_config_selectorIiEEZNS1_11reduce_implILb1ES3_PiS7_iN6thrust23THRUST_200600_302600_NS4plusIiEEEE10hipError_tPvRmT1_T2_T3_mT4_P12ihipStream_tbEUlT_E0_NS1_11comp_targetILNS1_3genE9ELNS1_11target_archE1100ELNS1_3gpuE3ELNS1_3repE0EEENS1_30default_config_static_selectorELNS0_4arch9wavefront6targetE1EEEvSF_.kd
    .uniform_work_group_size: 1
    .uses_dynamic_stack: false
    .vgpr_count:     0
    .vgpr_spill_count: 0
    .wavefront_size: 64
  - .agpr_count:     0
    .args:
      - .offset:         0
        .size:           56
        .value_kind:     by_value
    .group_segment_fixed_size: 0
    .kernarg_segment_align: 8
    .kernarg_segment_size: 56
    .language:       OpenCL C
    .language_version:
      - 2
      - 0
    .max_flat_workgroup_size: 256
    .name:           _ZN7rocprim17ROCPRIM_400000_NS6detail17trampoline_kernelINS0_14default_configENS1_22reduce_config_selectorIiEEZNS1_11reduce_implILb1ES3_PiS7_iN6thrust23THRUST_200600_302600_NS4plusIiEEEE10hipError_tPvRmT1_T2_T3_mT4_P12ihipStream_tbEUlT_E0_NS1_11comp_targetILNS1_3genE8ELNS1_11target_archE1030ELNS1_3gpuE2ELNS1_3repE0EEENS1_30default_config_static_selectorELNS0_4arch9wavefront6targetE1EEEvSF_
    .private_segment_fixed_size: 0
    .sgpr_count:     4
    .sgpr_spill_count: 0
    .symbol:         _ZN7rocprim17ROCPRIM_400000_NS6detail17trampoline_kernelINS0_14default_configENS1_22reduce_config_selectorIiEEZNS1_11reduce_implILb1ES3_PiS7_iN6thrust23THRUST_200600_302600_NS4plusIiEEEE10hipError_tPvRmT1_T2_T3_mT4_P12ihipStream_tbEUlT_E0_NS1_11comp_targetILNS1_3genE8ELNS1_11target_archE1030ELNS1_3gpuE2ELNS1_3repE0EEENS1_30default_config_static_selectorELNS0_4arch9wavefront6targetE1EEEvSF_.kd
    .uniform_work_group_size: 1
    .uses_dynamic_stack: false
    .vgpr_count:     0
    .vgpr_spill_count: 0
    .wavefront_size: 64
  - .agpr_count:     0
    .args:
      - .offset:         0
        .size:           40
        .value_kind:     by_value
    .group_segment_fixed_size: 0
    .kernarg_segment_align: 8
    .kernarg_segment_size: 40
    .language:       OpenCL C
    .language_version:
      - 2
      - 0
    .max_flat_workgroup_size: 256
    .name:           _ZN7rocprim17ROCPRIM_400000_NS6detail17trampoline_kernelINS0_14default_configENS1_22reduce_config_selectorIiEEZNS1_11reduce_implILb1ES3_PiS7_iN6thrust23THRUST_200600_302600_NS4plusIiEEEE10hipError_tPvRmT1_T2_T3_mT4_P12ihipStream_tbEUlT_E1_NS1_11comp_targetILNS1_3genE0ELNS1_11target_archE4294967295ELNS1_3gpuE0ELNS1_3repE0EEENS1_30default_config_static_selectorELNS0_4arch9wavefront6targetE1EEEvSF_
    .private_segment_fixed_size: 0
    .sgpr_count:     4
    .sgpr_spill_count: 0
    .symbol:         _ZN7rocprim17ROCPRIM_400000_NS6detail17trampoline_kernelINS0_14default_configENS1_22reduce_config_selectorIiEEZNS1_11reduce_implILb1ES3_PiS7_iN6thrust23THRUST_200600_302600_NS4plusIiEEEE10hipError_tPvRmT1_T2_T3_mT4_P12ihipStream_tbEUlT_E1_NS1_11comp_targetILNS1_3genE0ELNS1_11target_archE4294967295ELNS1_3gpuE0ELNS1_3repE0EEENS1_30default_config_static_selectorELNS0_4arch9wavefront6targetE1EEEvSF_.kd
    .uniform_work_group_size: 1
    .uses_dynamic_stack: false
    .vgpr_count:     0
    .vgpr_spill_count: 0
    .wavefront_size: 64
  - .agpr_count:     0
    .args:
      - .offset:         0
        .size:           40
        .value_kind:     by_value
    .group_segment_fixed_size: 0
    .kernarg_segment_align: 8
    .kernarg_segment_size: 40
    .language:       OpenCL C
    .language_version:
      - 2
      - 0
    .max_flat_workgroup_size: 256
    .name:           _ZN7rocprim17ROCPRIM_400000_NS6detail17trampoline_kernelINS0_14default_configENS1_22reduce_config_selectorIiEEZNS1_11reduce_implILb1ES3_PiS7_iN6thrust23THRUST_200600_302600_NS4plusIiEEEE10hipError_tPvRmT1_T2_T3_mT4_P12ihipStream_tbEUlT_E1_NS1_11comp_targetILNS1_3genE5ELNS1_11target_archE942ELNS1_3gpuE9ELNS1_3repE0EEENS1_30default_config_static_selectorELNS0_4arch9wavefront6targetE1EEEvSF_
    .private_segment_fixed_size: 0
    .sgpr_count:     4
    .sgpr_spill_count: 0
    .symbol:         _ZN7rocprim17ROCPRIM_400000_NS6detail17trampoline_kernelINS0_14default_configENS1_22reduce_config_selectorIiEEZNS1_11reduce_implILb1ES3_PiS7_iN6thrust23THRUST_200600_302600_NS4plusIiEEEE10hipError_tPvRmT1_T2_T3_mT4_P12ihipStream_tbEUlT_E1_NS1_11comp_targetILNS1_3genE5ELNS1_11target_archE942ELNS1_3gpuE9ELNS1_3repE0EEENS1_30default_config_static_selectorELNS0_4arch9wavefront6targetE1EEEvSF_.kd
    .uniform_work_group_size: 1
    .uses_dynamic_stack: false
    .vgpr_count:     0
    .vgpr_spill_count: 0
    .wavefront_size: 64
  - .agpr_count:     0
    .args:
      - .offset:         0
        .size:           40
        .value_kind:     by_value
    .group_segment_fixed_size: 56
    .kernarg_segment_align: 8
    .kernarg_segment_size: 40
    .language:       OpenCL C
    .language_version:
      - 2
      - 0
    .max_flat_workgroup_size: 128
    .name:           _ZN7rocprim17ROCPRIM_400000_NS6detail17trampoline_kernelINS0_14default_configENS1_22reduce_config_selectorIiEEZNS1_11reduce_implILb1ES3_PiS7_iN6thrust23THRUST_200600_302600_NS4plusIiEEEE10hipError_tPvRmT1_T2_T3_mT4_P12ihipStream_tbEUlT_E1_NS1_11comp_targetILNS1_3genE4ELNS1_11target_archE910ELNS1_3gpuE8ELNS1_3repE0EEENS1_30default_config_static_selectorELNS0_4arch9wavefront6targetE1EEEvSF_
    .private_segment_fixed_size: 0
    .sgpr_count:     47
    .sgpr_spill_count: 0
    .symbol:         _ZN7rocprim17ROCPRIM_400000_NS6detail17trampoline_kernelINS0_14default_configENS1_22reduce_config_selectorIiEEZNS1_11reduce_implILb1ES3_PiS7_iN6thrust23THRUST_200600_302600_NS4plusIiEEEE10hipError_tPvRmT1_T2_T3_mT4_P12ihipStream_tbEUlT_E1_NS1_11comp_targetILNS1_3genE4ELNS1_11target_archE910ELNS1_3gpuE8ELNS1_3repE0EEENS1_30default_config_static_selectorELNS0_4arch9wavefront6targetE1EEEvSF_.kd
    .uniform_work_group_size: 1
    .uses_dynamic_stack: false
    .vgpr_count:     35
    .vgpr_spill_count: 0
    .wavefront_size: 64
  - .agpr_count:     0
    .args:
      - .offset:         0
        .size:           40
        .value_kind:     by_value
    .group_segment_fixed_size: 0
    .kernarg_segment_align: 8
    .kernarg_segment_size: 40
    .language:       OpenCL C
    .language_version:
      - 2
      - 0
    .max_flat_workgroup_size: 256
    .name:           _ZN7rocprim17ROCPRIM_400000_NS6detail17trampoline_kernelINS0_14default_configENS1_22reduce_config_selectorIiEEZNS1_11reduce_implILb1ES3_PiS7_iN6thrust23THRUST_200600_302600_NS4plusIiEEEE10hipError_tPvRmT1_T2_T3_mT4_P12ihipStream_tbEUlT_E1_NS1_11comp_targetILNS1_3genE3ELNS1_11target_archE908ELNS1_3gpuE7ELNS1_3repE0EEENS1_30default_config_static_selectorELNS0_4arch9wavefront6targetE1EEEvSF_
    .private_segment_fixed_size: 0
    .sgpr_count:     4
    .sgpr_spill_count: 0
    .symbol:         _ZN7rocprim17ROCPRIM_400000_NS6detail17trampoline_kernelINS0_14default_configENS1_22reduce_config_selectorIiEEZNS1_11reduce_implILb1ES3_PiS7_iN6thrust23THRUST_200600_302600_NS4plusIiEEEE10hipError_tPvRmT1_T2_T3_mT4_P12ihipStream_tbEUlT_E1_NS1_11comp_targetILNS1_3genE3ELNS1_11target_archE908ELNS1_3gpuE7ELNS1_3repE0EEENS1_30default_config_static_selectorELNS0_4arch9wavefront6targetE1EEEvSF_.kd
    .uniform_work_group_size: 1
    .uses_dynamic_stack: false
    .vgpr_count:     0
    .vgpr_spill_count: 0
    .wavefront_size: 64
  - .agpr_count:     0
    .args:
      - .offset:         0
        .size:           40
        .value_kind:     by_value
    .group_segment_fixed_size: 0
    .kernarg_segment_align: 8
    .kernarg_segment_size: 40
    .language:       OpenCL C
    .language_version:
      - 2
      - 0
    .max_flat_workgroup_size: 256
    .name:           _ZN7rocprim17ROCPRIM_400000_NS6detail17trampoline_kernelINS0_14default_configENS1_22reduce_config_selectorIiEEZNS1_11reduce_implILb1ES3_PiS7_iN6thrust23THRUST_200600_302600_NS4plusIiEEEE10hipError_tPvRmT1_T2_T3_mT4_P12ihipStream_tbEUlT_E1_NS1_11comp_targetILNS1_3genE2ELNS1_11target_archE906ELNS1_3gpuE6ELNS1_3repE0EEENS1_30default_config_static_selectorELNS0_4arch9wavefront6targetE1EEEvSF_
    .private_segment_fixed_size: 0
    .sgpr_count:     4
    .sgpr_spill_count: 0
    .symbol:         _ZN7rocprim17ROCPRIM_400000_NS6detail17trampoline_kernelINS0_14default_configENS1_22reduce_config_selectorIiEEZNS1_11reduce_implILb1ES3_PiS7_iN6thrust23THRUST_200600_302600_NS4plusIiEEEE10hipError_tPvRmT1_T2_T3_mT4_P12ihipStream_tbEUlT_E1_NS1_11comp_targetILNS1_3genE2ELNS1_11target_archE906ELNS1_3gpuE6ELNS1_3repE0EEENS1_30default_config_static_selectorELNS0_4arch9wavefront6targetE1EEEvSF_.kd
    .uniform_work_group_size: 1
    .uses_dynamic_stack: false
    .vgpr_count:     0
    .vgpr_spill_count: 0
    .wavefront_size: 64
  - .agpr_count:     0
    .args:
      - .offset:         0
        .size:           40
        .value_kind:     by_value
    .group_segment_fixed_size: 0
    .kernarg_segment_align: 8
    .kernarg_segment_size: 40
    .language:       OpenCL C
    .language_version:
      - 2
      - 0
    .max_flat_workgroup_size: 256
    .name:           _ZN7rocprim17ROCPRIM_400000_NS6detail17trampoline_kernelINS0_14default_configENS1_22reduce_config_selectorIiEEZNS1_11reduce_implILb1ES3_PiS7_iN6thrust23THRUST_200600_302600_NS4plusIiEEEE10hipError_tPvRmT1_T2_T3_mT4_P12ihipStream_tbEUlT_E1_NS1_11comp_targetILNS1_3genE10ELNS1_11target_archE1201ELNS1_3gpuE5ELNS1_3repE0EEENS1_30default_config_static_selectorELNS0_4arch9wavefront6targetE1EEEvSF_
    .private_segment_fixed_size: 0
    .sgpr_count:     4
    .sgpr_spill_count: 0
    .symbol:         _ZN7rocprim17ROCPRIM_400000_NS6detail17trampoline_kernelINS0_14default_configENS1_22reduce_config_selectorIiEEZNS1_11reduce_implILb1ES3_PiS7_iN6thrust23THRUST_200600_302600_NS4plusIiEEEE10hipError_tPvRmT1_T2_T3_mT4_P12ihipStream_tbEUlT_E1_NS1_11comp_targetILNS1_3genE10ELNS1_11target_archE1201ELNS1_3gpuE5ELNS1_3repE0EEENS1_30default_config_static_selectorELNS0_4arch9wavefront6targetE1EEEvSF_.kd
    .uniform_work_group_size: 1
    .uses_dynamic_stack: false
    .vgpr_count:     0
    .vgpr_spill_count: 0
    .wavefront_size: 64
  - .agpr_count:     0
    .args:
      - .offset:         0
        .size:           40
        .value_kind:     by_value
    .group_segment_fixed_size: 0
    .kernarg_segment_align: 8
    .kernarg_segment_size: 40
    .language:       OpenCL C
    .language_version:
      - 2
      - 0
    .max_flat_workgroup_size: 256
    .name:           _ZN7rocprim17ROCPRIM_400000_NS6detail17trampoline_kernelINS0_14default_configENS1_22reduce_config_selectorIiEEZNS1_11reduce_implILb1ES3_PiS7_iN6thrust23THRUST_200600_302600_NS4plusIiEEEE10hipError_tPvRmT1_T2_T3_mT4_P12ihipStream_tbEUlT_E1_NS1_11comp_targetILNS1_3genE10ELNS1_11target_archE1200ELNS1_3gpuE4ELNS1_3repE0EEENS1_30default_config_static_selectorELNS0_4arch9wavefront6targetE1EEEvSF_
    .private_segment_fixed_size: 0
    .sgpr_count:     4
    .sgpr_spill_count: 0
    .symbol:         _ZN7rocprim17ROCPRIM_400000_NS6detail17trampoline_kernelINS0_14default_configENS1_22reduce_config_selectorIiEEZNS1_11reduce_implILb1ES3_PiS7_iN6thrust23THRUST_200600_302600_NS4plusIiEEEE10hipError_tPvRmT1_T2_T3_mT4_P12ihipStream_tbEUlT_E1_NS1_11comp_targetILNS1_3genE10ELNS1_11target_archE1200ELNS1_3gpuE4ELNS1_3repE0EEENS1_30default_config_static_selectorELNS0_4arch9wavefront6targetE1EEEvSF_.kd
    .uniform_work_group_size: 1
    .uses_dynamic_stack: false
    .vgpr_count:     0
    .vgpr_spill_count: 0
    .wavefront_size: 64
  - .agpr_count:     0
    .args:
      - .offset:         0
        .size:           40
        .value_kind:     by_value
    .group_segment_fixed_size: 0
    .kernarg_segment_align: 8
    .kernarg_segment_size: 40
    .language:       OpenCL C
    .language_version:
      - 2
      - 0
    .max_flat_workgroup_size: 256
    .name:           _ZN7rocprim17ROCPRIM_400000_NS6detail17trampoline_kernelINS0_14default_configENS1_22reduce_config_selectorIiEEZNS1_11reduce_implILb1ES3_PiS7_iN6thrust23THRUST_200600_302600_NS4plusIiEEEE10hipError_tPvRmT1_T2_T3_mT4_P12ihipStream_tbEUlT_E1_NS1_11comp_targetILNS1_3genE9ELNS1_11target_archE1100ELNS1_3gpuE3ELNS1_3repE0EEENS1_30default_config_static_selectorELNS0_4arch9wavefront6targetE1EEEvSF_
    .private_segment_fixed_size: 0
    .sgpr_count:     4
    .sgpr_spill_count: 0
    .symbol:         _ZN7rocprim17ROCPRIM_400000_NS6detail17trampoline_kernelINS0_14default_configENS1_22reduce_config_selectorIiEEZNS1_11reduce_implILb1ES3_PiS7_iN6thrust23THRUST_200600_302600_NS4plusIiEEEE10hipError_tPvRmT1_T2_T3_mT4_P12ihipStream_tbEUlT_E1_NS1_11comp_targetILNS1_3genE9ELNS1_11target_archE1100ELNS1_3gpuE3ELNS1_3repE0EEENS1_30default_config_static_selectorELNS0_4arch9wavefront6targetE1EEEvSF_.kd
    .uniform_work_group_size: 1
    .uses_dynamic_stack: false
    .vgpr_count:     0
    .vgpr_spill_count: 0
    .wavefront_size: 64
  - .agpr_count:     0
    .args:
      - .offset:         0
        .size:           40
        .value_kind:     by_value
    .group_segment_fixed_size: 0
    .kernarg_segment_align: 8
    .kernarg_segment_size: 40
    .language:       OpenCL C
    .language_version:
      - 2
      - 0
    .max_flat_workgroup_size: 256
    .name:           _ZN7rocprim17ROCPRIM_400000_NS6detail17trampoline_kernelINS0_14default_configENS1_22reduce_config_selectorIiEEZNS1_11reduce_implILb1ES3_PiS7_iN6thrust23THRUST_200600_302600_NS4plusIiEEEE10hipError_tPvRmT1_T2_T3_mT4_P12ihipStream_tbEUlT_E1_NS1_11comp_targetILNS1_3genE8ELNS1_11target_archE1030ELNS1_3gpuE2ELNS1_3repE0EEENS1_30default_config_static_selectorELNS0_4arch9wavefront6targetE1EEEvSF_
    .private_segment_fixed_size: 0
    .sgpr_count:     4
    .sgpr_spill_count: 0
    .symbol:         _ZN7rocprim17ROCPRIM_400000_NS6detail17trampoline_kernelINS0_14default_configENS1_22reduce_config_selectorIiEEZNS1_11reduce_implILb1ES3_PiS7_iN6thrust23THRUST_200600_302600_NS4plusIiEEEE10hipError_tPvRmT1_T2_T3_mT4_P12ihipStream_tbEUlT_E1_NS1_11comp_targetILNS1_3genE8ELNS1_11target_archE1030ELNS1_3gpuE2ELNS1_3repE0EEENS1_30default_config_static_selectorELNS0_4arch9wavefront6targetE1EEEvSF_.kd
    .uniform_work_group_size: 1
    .uses_dynamic_stack: false
    .vgpr_count:     0
    .vgpr_spill_count: 0
    .wavefront_size: 64
  - .agpr_count:     0
    .args:
      - .offset:         0
        .size:           72
        .value_kind:     by_value
    .group_segment_fixed_size: 0
    .kernarg_segment_align: 8
    .kernarg_segment_size: 72
    .language:       OpenCL C
    .language_version:
      - 2
      - 0
    .max_flat_workgroup_size: 256
    .name:           _ZN7rocprim17ROCPRIM_400000_NS6detail17trampoline_kernelINS0_14default_configENS1_22reduce_config_selectorIiEEZNS1_11reduce_implILb1ES3_N6thrust23THRUST_200600_302600_NS11hip_rocprim35transform_pair_of_input_iterators_tIiNS8_6detail15normal_iteratorINS8_10device_ptrIKcEEEESG_13is_word_startEEPiiNS8_4plusIiEEEE10hipError_tPvRmT1_T2_T3_mT4_P12ihipStream_tbEUlT_E0_NS1_11comp_targetILNS1_3genE0ELNS1_11target_archE4294967295ELNS1_3gpuE0ELNS1_3repE0EEENS1_30default_config_static_selectorELNS0_4arch9wavefront6targetE1EEEvSP_
    .private_segment_fixed_size: 0
    .sgpr_count:     4
    .sgpr_spill_count: 0
    .symbol:         _ZN7rocprim17ROCPRIM_400000_NS6detail17trampoline_kernelINS0_14default_configENS1_22reduce_config_selectorIiEEZNS1_11reduce_implILb1ES3_N6thrust23THRUST_200600_302600_NS11hip_rocprim35transform_pair_of_input_iterators_tIiNS8_6detail15normal_iteratorINS8_10device_ptrIKcEEEESG_13is_word_startEEPiiNS8_4plusIiEEEE10hipError_tPvRmT1_T2_T3_mT4_P12ihipStream_tbEUlT_E0_NS1_11comp_targetILNS1_3genE0ELNS1_11target_archE4294967295ELNS1_3gpuE0ELNS1_3repE0EEENS1_30default_config_static_selectorELNS0_4arch9wavefront6targetE1EEEvSP_.kd
    .uniform_work_group_size: 1
    .uses_dynamic_stack: false
    .vgpr_count:     0
    .vgpr_spill_count: 0
    .wavefront_size: 64
  - .agpr_count:     0
    .args:
      - .offset:         0
        .size:           72
        .value_kind:     by_value
    .group_segment_fixed_size: 0
    .kernarg_segment_align: 8
    .kernarg_segment_size: 72
    .language:       OpenCL C
    .language_version:
      - 2
      - 0
    .max_flat_workgroup_size: 256
    .name:           _ZN7rocprim17ROCPRIM_400000_NS6detail17trampoline_kernelINS0_14default_configENS1_22reduce_config_selectorIiEEZNS1_11reduce_implILb1ES3_N6thrust23THRUST_200600_302600_NS11hip_rocprim35transform_pair_of_input_iterators_tIiNS8_6detail15normal_iteratorINS8_10device_ptrIKcEEEESG_13is_word_startEEPiiNS8_4plusIiEEEE10hipError_tPvRmT1_T2_T3_mT4_P12ihipStream_tbEUlT_E0_NS1_11comp_targetILNS1_3genE5ELNS1_11target_archE942ELNS1_3gpuE9ELNS1_3repE0EEENS1_30default_config_static_selectorELNS0_4arch9wavefront6targetE1EEEvSP_
    .private_segment_fixed_size: 0
    .sgpr_count:     4
    .sgpr_spill_count: 0
    .symbol:         _ZN7rocprim17ROCPRIM_400000_NS6detail17trampoline_kernelINS0_14default_configENS1_22reduce_config_selectorIiEEZNS1_11reduce_implILb1ES3_N6thrust23THRUST_200600_302600_NS11hip_rocprim35transform_pair_of_input_iterators_tIiNS8_6detail15normal_iteratorINS8_10device_ptrIKcEEEESG_13is_word_startEEPiiNS8_4plusIiEEEE10hipError_tPvRmT1_T2_T3_mT4_P12ihipStream_tbEUlT_E0_NS1_11comp_targetILNS1_3genE5ELNS1_11target_archE942ELNS1_3gpuE9ELNS1_3repE0EEENS1_30default_config_static_selectorELNS0_4arch9wavefront6targetE1EEEvSP_.kd
    .uniform_work_group_size: 1
    .uses_dynamic_stack: false
    .vgpr_count:     0
    .vgpr_spill_count: 0
    .wavefront_size: 64
  - .agpr_count:     0
    .args:
      - .offset:         0
        .size:           72
        .value_kind:     by_value
    .group_segment_fixed_size: 16
    .kernarg_segment_align: 8
    .kernarg_segment_size: 72
    .language:       OpenCL C
    .language_version:
      - 2
      - 0
    .max_flat_workgroup_size: 128
    .name:           _ZN7rocprim17ROCPRIM_400000_NS6detail17trampoline_kernelINS0_14default_configENS1_22reduce_config_selectorIiEEZNS1_11reduce_implILb1ES3_N6thrust23THRUST_200600_302600_NS11hip_rocprim35transform_pair_of_input_iterators_tIiNS8_6detail15normal_iteratorINS8_10device_ptrIKcEEEESG_13is_word_startEEPiiNS8_4plusIiEEEE10hipError_tPvRmT1_T2_T3_mT4_P12ihipStream_tbEUlT_E0_NS1_11comp_targetILNS1_3genE4ELNS1_11target_archE910ELNS1_3gpuE8ELNS1_3repE0EEENS1_30default_config_static_selectorELNS0_4arch9wavefront6targetE1EEEvSP_
    .private_segment_fixed_size: 0
    .sgpr_count:     56
    .sgpr_spill_count: 0
    .symbol:         _ZN7rocprim17ROCPRIM_400000_NS6detail17trampoline_kernelINS0_14default_configENS1_22reduce_config_selectorIiEEZNS1_11reduce_implILb1ES3_N6thrust23THRUST_200600_302600_NS11hip_rocprim35transform_pair_of_input_iterators_tIiNS8_6detail15normal_iteratorINS8_10device_ptrIKcEEEESG_13is_word_startEEPiiNS8_4plusIiEEEE10hipError_tPvRmT1_T2_T3_mT4_P12ihipStream_tbEUlT_E0_NS1_11comp_targetILNS1_3genE4ELNS1_11target_archE910ELNS1_3gpuE8ELNS1_3repE0EEENS1_30default_config_static_selectorELNS0_4arch9wavefront6targetE1EEEvSP_.kd
    .uniform_work_group_size: 1
    .uses_dynamic_stack: false
    .vgpr_count:     21
    .vgpr_spill_count: 0
    .wavefront_size: 64
  - .agpr_count:     0
    .args:
      - .offset:         0
        .size:           72
        .value_kind:     by_value
    .group_segment_fixed_size: 0
    .kernarg_segment_align: 8
    .kernarg_segment_size: 72
    .language:       OpenCL C
    .language_version:
      - 2
      - 0
    .max_flat_workgroup_size: 256
    .name:           _ZN7rocprim17ROCPRIM_400000_NS6detail17trampoline_kernelINS0_14default_configENS1_22reduce_config_selectorIiEEZNS1_11reduce_implILb1ES3_N6thrust23THRUST_200600_302600_NS11hip_rocprim35transform_pair_of_input_iterators_tIiNS8_6detail15normal_iteratorINS8_10device_ptrIKcEEEESG_13is_word_startEEPiiNS8_4plusIiEEEE10hipError_tPvRmT1_T2_T3_mT4_P12ihipStream_tbEUlT_E0_NS1_11comp_targetILNS1_3genE3ELNS1_11target_archE908ELNS1_3gpuE7ELNS1_3repE0EEENS1_30default_config_static_selectorELNS0_4arch9wavefront6targetE1EEEvSP_
    .private_segment_fixed_size: 0
    .sgpr_count:     4
    .sgpr_spill_count: 0
    .symbol:         _ZN7rocprim17ROCPRIM_400000_NS6detail17trampoline_kernelINS0_14default_configENS1_22reduce_config_selectorIiEEZNS1_11reduce_implILb1ES3_N6thrust23THRUST_200600_302600_NS11hip_rocprim35transform_pair_of_input_iterators_tIiNS8_6detail15normal_iteratorINS8_10device_ptrIKcEEEESG_13is_word_startEEPiiNS8_4plusIiEEEE10hipError_tPvRmT1_T2_T3_mT4_P12ihipStream_tbEUlT_E0_NS1_11comp_targetILNS1_3genE3ELNS1_11target_archE908ELNS1_3gpuE7ELNS1_3repE0EEENS1_30default_config_static_selectorELNS0_4arch9wavefront6targetE1EEEvSP_.kd
    .uniform_work_group_size: 1
    .uses_dynamic_stack: false
    .vgpr_count:     0
    .vgpr_spill_count: 0
    .wavefront_size: 64
  - .agpr_count:     0
    .args:
      - .offset:         0
        .size:           72
        .value_kind:     by_value
    .group_segment_fixed_size: 0
    .kernarg_segment_align: 8
    .kernarg_segment_size: 72
    .language:       OpenCL C
    .language_version:
      - 2
      - 0
    .max_flat_workgroup_size: 256
    .name:           _ZN7rocprim17ROCPRIM_400000_NS6detail17trampoline_kernelINS0_14default_configENS1_22reduce_config_selectorIiEEZNS1_11reduce_implILb1ES3_N6thrust23THRUST_200600_302600_NS11hip_rocprim35transform_pair_of_input_iterators_tIiNS8_6detail15normal_iteratorINS8_10device_ptrIKcEEEESG_13is_word_startEEPiiNS8_4plusIiEEEE10hipError_tPvRmT1_T2_T3_mT4_P12ihipStream_tbEUlT_E0_NS1_11comp_targetILNS1_3genE2ELNS1_11target_archE906ELNS1_3gpuE6ELNS1_3repE0EEENS1_30default_config_static_selectorELNS0_4arch9wavefront6targetE1EEEvSP_
    .private_segment_fixed_size: 0
    .sgpr_count:     4
    .sgpr_spill_count: 0
    .symbol:         _ZN7rocprim17ROCPRIM_400000_NS6detail17trampoline_kernelINS0_14default_configENS1_22reduce_config_selectorIiEEZNS1_11reduce_implILb1ES3_N6thrust23THRUST_200600_302600_NS11hip_rocprim35transform_pair_of_input_iterators_tIiNS8_6detail15normal_iteratorINS8_10device_ptrIKcEEEESG_13is_word_startEEPiiNS8_4plusIiEEEE10hipError_tPvRmT1_T2_T3_mT4_P12ihipStream_tbEUlT_E0_NS1_11comp_targetILNS1_3genE2ELNS1_11target_archE906ELNS1_3gpuE6ELNS1_3repE0EEENS1_30default_config_static_selectorELNS0_4arch9wavefront6targetE1EEEvSP_.kd
    .uniform_work_group_size: 1
    .uses_dynamic_stack: false
    .vgpr_count:     0
    .vgpr_spill_count: 0
    .wavefront_size: 64
  - .agpr_count:     0
    .args:
      - .offset:         0
        .size:           72
        .value_kind:     by_value
    .group_segment_fixed_size: 0
    .kernarg_segment_align: 8
    .kernarg_segment_size: 72
    .language:       OpenCL C
    .language_version:
      - 2
      - 0
    .max_flat_workgroup_size: 256
    .name:           _ZN7rocprim17ROCPRIM_400000_NS6detail17trampoline_kernelINS0_14default_configENS1_22reduce_config_selectorIiEEZNS1_11reduce_implILb1ES3_N6thrust23THRUST_200600_302600_NS11hip_rocprim35transform_pair_of_input_iterators_tIiNS8_6detail15normal_iteratorINS8_10device_ptrIKcEEEESG_13is_word_startEEPiiNS8_4plusIiEEEE10hipError_tPvRmT1_T2_T3_mT4_P12ihipStream_tbEUlT_E0_NS1_11comp_targetILNS1_3genE10ELNS1_11target_archE1201ELNS1_3gpuE5ELNS1_3repE0EEENS1_30default_config_static_selectorELNS0_4arch9wavefront6targetE1EEEvSP_
    .private_segment_fixed_size: 0
    .sgpr_count:     4
    .sgpr_spill_count: 0
    .symbol:         _ZN7rocprim17ROCPRIM_400000_NS6detail17trampoline_kernelINS0_14default_configENS1_22reduce_config_selectorIiEEZNS1_11reduce_implILb1ES3_N6thrust23THRUST_200600_302600_NS11hip_rocprim35transform_pair_of_input_iterators_tIiNS8_6detail15normal_iteratorINS8_10device_ptrIKcEEEESG_13is_word_startEEPiiNS8_4plusIiEEEE10hipError_tPvRmT1_T2_T3_mT4_P12ihipStream_tbEUlT_E0_NS1_11comp_targetILNS1_3genE10ELNS1_11target_archE1201ELNS1_3gpuE5ELNS1_3repE0EEENS1_30default_config_static_selectorELNS0_4arch9wavefront6targetE1EEEvSP_.kd
    .uniform_work_group_size: 1
    .uses_dynamic_stack: false
    .vgpr_count:     0
    .vgpr_spill_count: 0
    .wavefront_size: 64
  - .agpr_count:     0
    .args:
      - .offset:         0
        .size:           72
        .value_kind:     by_value
    .group_segment_fixed_size: 0
    .kernarg_segment_align: 8
    .kernarg_segment_size: 72
    .language:       OpenCL C
    .language_version:
      - 2
      - 0
    .max_flat_workgroup_size: 256
    .name:           _ZN7rocprim17ROCPRIM_400000_NS6detail17trampoline_kernelINS0_14default_configENS1_22reduce_config_selectorIiEEZNS1_11reduce_implILb1ES3_N6thrust23THRUST_200600_302600_NS11hip_rocprim35transform_pair_of_input_iterators_tIiNS8_6detail15normal_iteratorINS8_10device_ptrIKcEEEESG_13is_word_startEEPiiNS8_4plusIiEEEE10hipError_tPvRmT1_T2_T3_mT4_P12ihipStream_tbEUlT_E0_NS1_11comp_targetILNS1_3genE10ELNS1_11target_archE1200ELNS1_3gpuE4ELNS1_3repE0EEENS1_30default_config_static_selectorELNS0_4arch9wavefront6targetE1EEEvSP_
    .private_segment_fixed_size: 0
    .sgpr_count:     4
    .sgpr_spill_count: 0
    .symbol:         _ZN7rocprim17ROCPRIM_400000_NS6detail17trampoline_kernelINS0_14default_configENS1_22reduce_config_selectorIiEEZNS1_11reduce_implILb1ES3_N6thrust23THRUST_200600_302600_NS11hip_rocprim35transform_pair_of_input_iterators_tIiNS8_6detail15normal_iteratorINS8_10device_ptrIKcEEEESG_13is_word_startEEPiiNS8_4plusIiEEEE10hipError_tPvRmT1_T2_T3_mT4_P12ihipStream_tbEUlT_E0_NS1_11comp_targetILNS1_3genE10ELNS1_11target_archE1200ELNS1_3gpuE4ELNS1_3repE0EEENS1_30default_config_static_selectorELNS0_4arch9wavefront6targetE1EEEvSP_.kd
    .uniform_work_group_size: 1
    .uses_dynamic_stack: false
    .vgpr_count:     0
    .vgpr_spill_count: 0
    .wavefront_size: 64
  - .agpr_count:     0
    .args:
      - .offset:         0
        .size:           72
        .value_kind:     by_value
    .group_segment_fixed_size: 0
    .kernarg_segment_align: 8
    .kernarg_segment_size: 72
    .language:       OpenCL C
    .language_version:
      - 2
      - 0
    .max_flat_workgroup_size: 256
    .name:           _ZN7rocprim17ROCPRIM_400000_NS6detail17trampoline_kernelINS0_14default_configENS1_22reduce_config_selectorIiEEZNS1_11reduce_implILb1ES3_N6thrust23THRUST_200600_302600_NS11hip_rocprim35transform_pair_of_input_iterators_tIiNS8_6detail15normal_iteratorINS8_10device_ptrIKcEEEESG_13is_word_startEEPiiNS8_4plusIiEEEE10hipError_tPvRmT1_T2_T3_mT4_P12ihipStream_tbEUlT_E0_NS1_11comp_targetILNS1_3genE9ELNS1_11target_archE1100ELNS1_3gpuE3ELNS1_3repE0EEENS1_30default_config_static_selectorELNS0_4arch9wavefront6targetE1EEEvSP_
    .private_segment_fixed_size: 0
    .sgpr_count:     4
    .sgpr_spill_count: 0
    .symbol:         _ZN7rocprim17ROCPRIM_400000_NS6detail17trampoline_kernelINS0_14default_configENS1_22reduce_config_selectorIiEEZNS1_11reduce_implILb1ES3_N6thrust23THRUST_200600_302600_NS11hip_rocprim35transform_pair_of_input_iterators_tIiNS8_6detail15normal_iteratorINS8_10device_ptrIKcEEEESG_13is_word_startEEPiiNS8_4plusIiEEEE10hipError_tPvRmT1_T2_T3_mT4_P12ihipStream_tbEUlT_E0_NS1_11comp_targetILNS1_3genE9ELNS1_11target_archE1100ELNS1_3gpuE3ELNS1_3repE0EEENS1_30default_config_static_selectorELNS0_4arch9wavefront6targetE1EEEvSP_.kd
    .uniform_work_group_size: 1
    .uses_dynamic_stack: false
    .vgpr_count:     0
    .vgpr_spill_count: 0
    .wavefront_size: 64
  - .agpr_count:     0
    .args:
      - .offset:         0
        .size:           72
        .value_kind:     by_value
    .group_segment_fixed_size: 0
    .kernarg_segment_align: 8
    .kernarg_segment_size: 72
    .language:       OpenCL C
    .language_version:
      - 2
      - 0
    .max_flat_workgroup_size: 256
    .name:           _ZN7rocprim17ROCPRIM_400000_NS6detail17trampoline_kernelINS0_14default_configENS1_22reduce_config_selectorIiEEZNS1_11reduce_implILb1ES3_N6thrust23THRUST_200600_302600_NS11hip_rocprim35transform_pair_of_input_iterators_tIiNS8_6detail15normal_iteratorINS8_10device_ptrIKcEEEESG_13is_word_startEEPiiNS8_4plusIiEEEE10hipError_tPvRmT1_T2_T3_mT4_P12ihipStream_tbEUlT_E0_NS1_11comp_targetILNS1_3genE8ELNS1_11target_archE1030ELNS1_3gpuE2ELNS1_3repE0EEENS1_30default_config_static_selectorELNS0_4arch9wavefront6targetE1EEEvSP_
    .private_segment_fixed_size: 0
    .sgpr_count:     4
    .sgpr_spill_count: 0
    .symbol:         _ZN7rocprim17ROCPRIM_400000_NS6detail17trampoline_kernelINS0_14default_configENS1_22reduce_config_selectorIiEEZNS1_11reduce_implILb1ES3_N6thrust23THRUST_200600_302600_NS11hip_rocprim35transform_pair_of_input_iterators_tIiNS8_6detail15normal_iteratorINS8_10device_ptrIKcEEEESG_13is_word_startEEPiiNS8_4plusIiEEEE10hipError_tPvRmT1_T2_T3_mT4_P12ihipStream_tbEUlT_E0_NS1_11comp_targetILNS1_3genE8ELNS1_11target_archE1030ELNS1_3gpuE2ELNS1_3repE0EEENS1_30default_config_static_selectorELNS0_4arch9wavefront6targetE1EEEvSP_.kd
    .uniform_work_group_size: 1
    .uses_dynamic_stack: false
    .vgpr_count:     0
    .vgpr_spill_count: 0
    .wavefront_size: 64
  - .agpr_count:     0
    .args:
      - .offset:         0
        .size:           56
        .value_kind:     by_value
    .group_segment_fixed_size: 0
    .kernarg_segment_align: 8
    .kernarg_segment_size: 56
    .language:       OpenCL C
    .language_version:
      - 2
      - 0
    .max_flat_workgroup_size: 256
    .name:           _ZN7rocprim17ROCPRIM_400000_NS6detail17trampoline_kernelINS0_14default_configENS1_22reduce_config_selectorIiEEZNS1_11reduce_implILb1ES3_N6thrust23THRUST_200600_302600_NS11hip_rocprim35transform_pair_of_input_iterators_tIiNS8_6detail15normal_iteratorINS8_10device_ptrIKcEEEESG_13is_word_startEEPiiNS8_4plusIiEEEE10hipError_tPvRmT1_T2_T3_mT4_P12ihipStream_tbEUlT_E1_NS1_11comp_targetILNS1_3genE0ELNS1_11target_archE4294967295ELNS1_3gpuE0ELNS1_3repE0EEENS1_30default_config_static_selectorELNS0_4arch9wavefront6targetE1EEEvSP_
    .private_segment_fixed_size: 0
    .sgpr_count:     4
    .sgpr_spill_count: 0
    .symbol:         _ZN7rocprim17ROCPRIM_400000_NS6detail17trampoline_kernelINS0_14default_configENS1_22reduce_config_selectorIiEEZNS1_11reduce_implILb1ES3_N6thrust23THRUST_200600_302600_NS11hip_rocprim35transform_pair_of_input_iterators_tIiNS8_6detail15normal_iteratorINS8_10device_ptrIKcEEEESG_13is_word_startEEPiiNS8_4plusIiEEEE10hipError_tPvRmT1_T2_T3_mT4_P12ihipStream_tbEUlT_E1_NS1_11comp_targetILNS1_3genE0ELNS1_11target_archE4294967295ELNS1_3gpuE0ELNS1_3repE0EEENS1_30default_config_static_selectorELNS0_4arch9wavefront6targetE1EEEvSP_.kd
    .uniform_work_group_size: 1
    .uses_dynamic_stack: false
    .vgpr_count:     0
    .vgpr_spill_count: 0
    .wavefront_size: 64
  - .agpr_count:     0
    .args:
      - .offset:         0
        .size:           56
        .value_kind:     by_value
    .group_segment_fixed_size: 0
    .kernarg_segment_align: 8
    .kernarg_segment_size: 56
    .language:       OpenCL C
    .language_version:
      - 2
      - 0
    .max_flat_workgroup_size: 256
    .name:           _ZN7rocprim17ROCPRIM_400000_NS6detail17trampoline_kernelINS0_14default_configENS1_22reduce_config_selectorIiEEZNS1_11reduce_implILb1ES3_N6thrust23THRUST_200600_302600_NS11hip_rocprim35transform_pair_of_input_iterators_tIiNS8_6detail15normal_iteratorINS8_10device_ptrIKcEEEESG_13is_word_startEEPiiNS8_4plusIiEEEE10hipError_tPvRmT1_T2_T3_mT4_P12ihipStream_tbEUlT_E1_NS1_11comp_targetILNS1_3genE5ELNS1_11target_archE942ELNS1_3gpuE9ELNS1_3repE0EEENS1_30default_config_static_selectorELNS0_4arch9wavefront6targetE1EEEvSP_
    .private_segment_fixed_size: 0
    .sgpr_count:     4
    .sgpr_spill_count: 0
    .symbol:         _ZN7rocprim17ROCPRIM_400000_NS6detail17trampoline_kernelINS0_14default_configENS1_22reduce_config_selectorIiEEZNS1_11reduce_implILb1ES3_N6thrust23THRUST_200600_302600_NS11hip_rocprim35transform_pair_of_input_iterators_tIiNS8_6detail15normal_iteratorINS8_10device_ptrIKcEEEESG_13is_word_startEEPiiNS8_4plusIiEEEE10hipError_tPvRmT1_T2_T3_mT4_P12ihipStream_tbEUlT_E1_NS1_11comp_targetILNS1_3genE5ELNS1_11target_archE942ELNS1_3gpuE9ELNS1_3repE0EEENS1_30default_config_static_selectorELNS0_4arch9wavefront6targetE1EEEvSP_.kd
    .uniform_work_group_size: 1
    .uses_dynamic_stack: false
    .vgpr_count:     0
    .vgpr_spill_count: 0
    .wavefront_size: 64
  - .agpr_count:     0
    .args:
      - .offset:         0
        .size:           56
        .value_kind:     by_value
    .group_segment_fixed_size: 56
    .kernarg_segment_align: 8
    .kernarg_segment_size: 56
    .language:       OpenCL C
    .language_version:
      - 2
      - 0
    .max_flat_workgroup_size: 128
    .name:           _ZN7rocprim17ROCPRIM_400000_NS6detail17trampoline_kernelINS0_14default_configENS1_22reduce_config_selectorIiEEZNS1_11reduce_implILb1ES3_N6thrust23THRUST_200600_302600_NS11hip_rocprim35transform_pair_of_input_iterators_tIiNS8_6detail15normal_iteratorINS8_10device_ptrIKcEEEESG_13is_word_startEEPiiNS8_4plusIiEEEE10hipError_tPvRmT1_T2_T3_mT4_P12ihipStream_tbEUlT_E1_NS1_11comp_targetILNS1_3genE4ELNS1_11target_archE910ELNS1_3gpuE8ELNS1_3repE0EEENS1_30default_config_static_selectorELNS0_4arch9wavefront6targetE1EEEvSP_
    .private_segment_fixed_size: 0
    .sgpr_count:     90
    .sgpr_spill_count: 0
    .symbol:         _ZN7rocprim17ROCPRIM_400000_NS6detail17trampoline_kernelINS0_14default_configENS1_22reduce_config_selectorIiEEZNS1_11reduce_implILb1ES3_N6thrust23THRUST_200600_302600_NS11hip_rocprim35transform_pair_of_input_iterators_tIiNS8_6detail15normal_iteratorINS8_10device_ptrIKcEEEESG_13is_word_startEEPiiNS8_4plusIiEEEE10hipError_tPvRmT1_T2_T3_mT4_P12ihipStream_tbEUlT_E1_NS1_11comp_targetILNS1_3genE4ELNS1_11target_archE910ELNS1_3gpuE8ELNS1_3repE0EEENS1_30default_config_static_selectorELNS0_4arch9wavefront6targetE1EEEvSP_.kd
    .uniform_work_group_size: 1
    .uses_dynamic_stack: false
    .vgpr_count:     43
    .vgpr_spill_count: 0
    .wavefront_size: 64
  - .agpr_count:     0
    .args:
      - .offset:         0
        .size:           56
        .value_kind:     by_value
    .group_segment_fixed_size: 0
    .kernarg_segment_align: 8
    .kernarg_segment_size: 56
    .language:       OpenCL C
    .language_version:
      - 2
      - 0
    .max_flat_workgroup_size: 256
    .name:           _ZN7rocprim17ROCPRIM_400000_NS6detail17trampoline_kernelINS0_14default_configENS1_22reduce_config_selectorIiEEZNS1_11reduce_implILb1ES3_N6thrust23THRUST_200600_302600_NS11hip_rocprim35transform_pair_of_input_iterators_tIiNS8_6detail15normal_iteratorINS8_10device_ptrIKcEEEESG_13is_word_startEEPiiNS8_4plusIiEEEE10hipError_tPvRmT1_T2_T3_mT4_P12ihipStream_tbEUlT_E1_NS1_11comp_targetILNS1_3genE3ELNS1_11target_archE908ELNS1_3gpuE7ELNS1_3repE0EEENS1_30default_config_static_selectorELNS0_4arch9wavefront6targetE1EEEvSP_
    .private_segment_fixed_size: 0
    .sgpr_count:     4
    .sgpr_spill_count: 0
    .symbol:         _ZN7rocprim17ROCPRIM_400000_NS6detail17trampoline_kernelINS0_14default_configENS1_22reduce_config_selectorIiEEZNS1_11reduce_implILb1ES3_N6thrust23THRUST_200600_302600_NS11hip_rocprim35transform_pair_of_input_iterators_tIiNS8_6detail15normal_iteratorINS8_10device_ptrIKcEEEESG_13is_word_startEEPiiNS8_4plusIiEEEE10hipError_tPvRmT1_T2_T3_mT4_P12ihipStream_tbEUlT_E1_NS1_11comp_targetILNS1_3genE3ELNS1_11target_archE908ELNS1_3gpuE7ELNS1_3repE0EEENS1_30default_config_static_selectorELNS0_4arch9wavefront6targetE1EEEvSP_.kd
    .uniform_work_group_size: 1
    .uses_dynamic_stack: false
    .vgpr_count:     0
    .vgpr_spill_count: 0
    .wavefront_size: 64
  - .agpr_count:     0
    .args:
      - .offset:         0
        .size:           56
        .value_kind:     by_value
    .group_segment_fixed_size: 0
    .kernarg_segment_align: 8
    .kernarg_segment_size: 56
    .language:       OpenCL C
    .language_version:
      - 2
      - 0
    .max_flat_workgroup_size: 256
    .name:           _ZN7rocprim17ROCPRIM_400000_NS6detail17trampoline_kernelINS0_14default_configENS1_22reduce_config_selectorIiEEZNS1_11reduce_implILb1ES3_N6thrust23THRUST_200600_302600_NS11hip_rocprim35transform_pair_of_input_iterators_tIiNS8_6detail15normal_iteratorINS8_10device_ptrIKcEEEESG_13is_word_startEEPiiNS8_4plusIiEEEE10hipError_tPvRmT1_T2_T3_mT4_P12ihipStream_tbEUlT_E1_NS1_11comp_targetILNS1_3genE2ELNS1_11target_archE906ELNS1_3gpuE6ELNS1_3repE0EEENS1_30default_config_static_selectorELNS0_4arch9wavefront6targetE1EEEvSP_
    .private_segment_fixed_size: 0
    .sgpr_count:     4
    .sgpr_spill_count: 0
    .symbol:         _ZN7rocprim17ROCPRIM_400000_NS6detail17trampoline_kernelINS0_14default_configENS1_22reduce_config_selectorIiEEZNS1_11reduce_implILb1ES3_N6thrust23THRUST_200600_302600_NS11hip_rocprim35transform_pair_of_input_iterators_tIiNS8_6detail15normal_iteratorINS8_10device_ptrIKcEEEESG_13is_word_startEEPiiNS8_4plusIiEEEE10hipError_tPvRmT1_T2_T3_mT4_P12ihipStream_tbEUlT_E1_NS1_11comp_targetILNS1_3genE2ELNS1_11target_archE906ELNS1_3gpuE6ELNS1_3repE0EEENS1_30default_config_static_selectorELNS0_4arch9wavefront6targetE1EEEvSP_.kd
    .uniform_work_group_size: 1
    .uses_dynamic_stack: false
    .vgpr_count:     0
    .vgpr_spill_count: 0
    .wavefront_size: 64
  - .agpr_count:     0
    .args:
      - .offset:         0
        .size:           56
        .value_kind:     by_value
    .group_segment_fixed_size: 0
    .kernarg_segment_align: 8
    .kernarg_segment_size: 56
    .language:       OpenCL C
    .language_version:
      - 2
      - 0
    .max_flat_workgroup_size: 256
    .name:           _ZN7rocprim17ROCPRIM_400000_NS6detail17trampoline_kernelINS0_14default_configENS1_22reduce_config_selectorIiEEZNS1_11reduce_implILb1ES3_N6thrust23THRUST_200600_302600_NS11hip_rocprim35transform_pair_of_input_iterators_tIiNS8_6detail15normal_iteratorINS8_10device_ptrIKcEEEESG_13is_word_startEEPiiNS8_4plusIiEEEE10hipError_tPvRmT1_T2_T3_mT4_P12ihipStream_tbEUlT_E1_NS1_11comp_targetILNS1_3genE10ELNS1_11target_archE1201ELNS1_3gpuE5ELNS1_3repE0EEENS1_30default_config_static_selectorELNS0_4arch9wavefront6targetE1EEEvSP_
    .private_segment_fixed_size: 0
    .sgpr_count:     4
    .sgpr_spill_count: 0
    .symbol:         _ZN7rocprim17ROCPRIM_400000_NS6detail17trampoline_kernelINS0_14default_configENS1_22reduce_config_selectorIiEEZNS1_11reduce_implILb1ES3_N6thrust23THRUST_200600_302600_NS11hip_rocprim35transform_pair_of_input_iterators_tIiNS8_6detail15normal_iteratorINS8_10device_ptrIKcEEEESG_13is_word_startEEPiiNS8_4plusIiEEEE10hipError_tPvRmT1_T2_T3_mT4_P12ihipStream_tbEUlT_E1_NS1_11comp_targetILNS1_3genE10ELNS1_11target_archE1201ELNS1_3gpuE5ELNS1_3repE0EEENS1_30default_config_static_selectorELNS0_4arch9wavefront6targetE1EEEvSP_.kd
    .uniform_work_group_size: 1
    .uses_dynamic_stack: false
    .vgpr_count:     0
    .vgpr_spill_count: 0
    .wavefront_size: 64
  - .agpr_count:     0
    .args:
      - .offset:         0
        .size:           56
        .value_kind:     by_value
    .group_segment_fixed_size: 0
    .kernarg_segment_align: 8
    .kernarg_segment_size: 56
    .language:       OpenCL C
    .language_version:
      - 2
      - 0
    .max_flat_workgroup_size: 256
    .name:           _ZN7rocprim17ROCPRIM_400000_NS6detail17trampoline_kernelINS0_14default_configENS1_22reduce_config_selectorIiEEZNS1_11reduce_implILb1ES3_N6thrust23THRUST_200600_302600_NS11hip_rocprim35transform_pair_of_input_iterators_tIiNS8_6detail15normal_iteratorINS8_10device_ptrIKcEEEESG_13is_word_startEEPiiNS8_4plusIiEEEE10hipError_tPvRmT1_T2_T3_mT4_P12ihipStream_tbEUlT_E1_NS1_11comp_targetILNS1_3genE10ELNS1_11target_archE1200ELNS1_3gpuE4ELNS1_3repE0EEENS1_30default_config_static_selectorELNS0_4arch9wavefront6targetE1EEEvSP_
    .private_segment_fixed_size: 0
    .sgpr_count:     4
    .sgpr_spill_count: 0
    .symbol:         _ZN7rocprim17ROCPRIM_400000_NS6detail17trampoline_kernelINS0_14default_configENS1_22reduce_config_selectorIiEEZNS1_11reduce_implILb1ES3_N6thrust23THRUST_200600_302600_NS11hip_rocprim35transform_pair_of_input_iterators_tIiNS8_6detail15normal_iteratorINS8_10device_ptrIKcEEEESG_13is_word_startEEPiiNS8_4plusIiEEEE10hipError_tPvRmT1_T2_T3_mT4_P12ihipStream_tbEUlT_E1_NS1_11comp_targetILNS1_3genE10ELNS1_11target_archE1200ELNS1_3gpuE4ELNS1_3repE0EEENS1_30default_config_static_selectorELNS0_4arch9wavefront6targetE1EEEvSP_.kd
    .uniform_work_group_size: 1
    .uses_dynamic_stack: false
    .vgpr_count:     0
    .vgpr_spill_count: 0
    .wavefront_size: 64
  - .agpr_count:     0
    .args:
      - .offset:         0
        .size:           56
        .value_kind:     by_value
    .group_segment_fixed_size: 0
    .kernarg_segment_align: 8
    .kernarg_segment_size: 56
    .language:       OpenCL C
    .language_version:
      - 2
      - 0
    .max_flat_workgroup_size: 256
    .name:           _ZN7rocprim17ROCPRIM_400000_NS6detail17trampoline_kernelINS0_14default_configENS1_22reduce_config_selectorIiEEZNS1_11reduce_implILb1ES3_N6thrust23THRUST_200600_302600_NS11hip_rocprim35transform_pair_of_input_iterators_tIiNS8_6detail15normal_iteratorINS8_10device_ptrIKcEEEESG_13is_word_startEEPiiNS8_4plusIiEEEE10hipError_tPvRmT1_T2_T3_mT4_P12ihipStream_tbEUlT_E1_NS1_11comp_targetILNS1_3genE9ELNS1_11target_archE1100ELNS1_3gpuE3ELNS1_3repE0EEENS1_30default_config_static_selectorELNS0_4arch9wavefront6targetE1EEEvSP_
    .private_segment_fixed_size: 0
    .sgpr_count:     4
    .sgpr_spill_count: 0
    .symbol:         _ZN7rocprim17ROCPRIM_400000_NS6detail17trampoline_kernelINS0_14default_configENS1_22reduce_config_selectorIiEEZNS1_11reduce_implILb1ES3_N6thrust23THRUST_200600_302600_NS11hip_rocprim35transform_pair_of_input_iterators_tIiNS8_6detail15normal_iteratorINS8_10device_ptrIKcEEEESG_13is_word_startEEPiiNS8_4plusIiEEEE10hipError_tPvRmT1_T2_T3_mT4_P12ihipStream_tbEUlT_E1_NS1_11comp_targetILNS1_3genE9ELNS1_11target_archE1100ELNS1_3gpuE3ELNS1_3repE0EEENS1_30default_config_static_selectorELNS0_4arch9wavefront6targetE1EEEvSP_.kd
    .uniform_work_group_size: 1
    .uses_dynamic_stack: false
    .vgpr_count:     0
    .vgpr_spill_count: 0
    .wavefront_size: 64
  - .agpr_count:     0
    .args:
      - .offset:         0
        .size:           56
        .value_kind:     by_value
    .group_segment_fixed_size: 0
    .kernarg_segment_align: 8
    .kernarg_segment_size: 56
    .language:       OpenCL C
    .language_version:
      - 2
      - 0
    .max_flat_workgroup_size: 256
    .name:           _ZN7rocprim17ROCPRIM_400000_NS6detail17trampoline_kernelINS0_14default_configENS1_22reduce_config_selectorIiEEZNS1_11reduce_implILb1ES3_N6thrust23THRUST_200600_302600_NS11hip_rocprim35transform_pair_of_input_iterators_tIiNS8_6detail15normal_iteratorINS8_10device_ptrIKcEEEESG_13is_word_startEEPiiNS8_4plusIiEEEE10hipError_tPvRmT1_T2_T3_mT4_P12ihipStream_tbEUlT_E1_NS1_11comp_targetILNS1_3genE8ELNS1_11target_archE1030ELNS1_3gpuE2ELNS1_3repE0EEENS1_30default_config_static_selectorELNS0_4arch9wavefront6targetE1EEEvSP_
    .private_segment_fixed_size: 0
    .sgpr_count:     4
    .sgpr_spill_count: 0
    .symbol:         _ZN7rocprim17ROCPRIM_400000_NS6detail17trampoline_kernelINS0_14default_configENS1_22reduce_config_selectorIiEEZNS1_11reduce_implILb1ES3_N6thrust23THRUST_200600_302600_NS11hip_rocprim35transform_pair_of_input_iterators_tIiNS8_6detail15normal_iteratorINS8_10device_ptrIKcEEEESG_13is_word_startEEPiiNS8_4plusIiEEEE10hipError_tPvRmT1_T2_T3_mT4_P12ihipStream_tbEUlT_E1_NS1_11comp_targetILNS1_3genE8ELNS1_11target_archE1030ELNS1_3gpuE2ELNS1_3repE0EEENS1_30default_config_static_selectorELNS0_4arch9wavefront6targetE1EEEvSP_.kd
    .uniform_work_group_size: 1
    .uses_dynamic_stack: false
    .vgpr_count:     0
    .vgpr_spill_count: 0
    .wavefront_size: 64
amdhsa.target:   amdgcn-amd-amdhsa--gfx90a
amdhsa.version:
  - 1
  - 2
...

	.end_amdgpu_metadata
